;; amdgpu-corpus repo=ROCm/rocFFT kind=compiled arch=gfx950 opt=O3
	.text
	.amdgcn_target "amdgcn-amd-amdhsa--gfx950"
	.amdhsa_code_object_version 6
	.protected	fft_rtc_back_len1728_factors_3_6_6_16_wgs_108_tpt_108_halfLds_sp_ip_CI_sbrr_dirReg ; -- Begin function fft_rtc_back_len1728_factors_3_6_6_16_wgs_108_tpt_108_halfLds_sp_ip_CI_sbrr_dirReg
	.globl	fft_rtc_back_len1728_factors_3_6_6_16_wgs_108_tpt_108_halfLds_sp_ip_CI_sbrr_dirReg
	.p2align	8
	.type	fft_rtc_back_len1728_factors_3_6_6_16_wgs_108_tpt_108_halfLds_sp_ip_CI_sbrr_dirReg,@function
fft_rtc_back_len1728_factors_3_6_6_16_wgs_108_tpt_108_halfLds_sp_ip_CI_sbrr_dirReg: ; @fft_rtc_back_len1728_factors_3_6_6_16_wgs_108_tpt_108_halfLds_sp_ip_CI_sbrr_dirReg
; %bb.0:
	s_load_dwordx2 s[12:13], s[0:1], 0x18
	s_load_dwordx4 s[8:11], s[0:1], 0x0
	s_load_dwordx2 s[4:5], s[0:1], 0x50
	v_mul_u32_u24_e32 v1, 0x25f, v0
	v_add_u32_sdwa v6, s2, v1 dst_sel:DWORD dst_unused:UNUSED_PAD src0_sel:DWORD src1_sel:WORD_1
	s_waitcnt lgkmcnt(0)
	s_load_dwordx2 s[6:7], s[12:13], 0x0
	v_mov_b32_e32 v4, 0
	v_cmp_lt_u64_e64 s[2:3], s[10:11], 2
	v_mov_b32_e32 v7, v4
	s_and_b64 vcc, exec, s[2:3]
	v_mov_b64_e32 v[2:3], 0
	s_cbranch_vccnz .LBB0_8
; %bb.1:
	s_load_dwordx2 s[2:3], s[0:1], 0x10
	s_add_u32 s14, s12, 8
	s_addc_u32 s15, s13, 0
	s_mov_b64 s[16:17], 1
	v_mov_b64_e32 v[2:3], 0
	s_waitcnt lgkmcnt(0)
	s_add_u32 s18, s2, 8
	s_addc_u32 s19, s3, 0
.LBB0_2:                                ; =>This Inner Loop Header: Depth=1
	s_load_dwordx2 s[20:21], s[18:19], 0x0
                                        ; implicit-def: $vgpr8_vgpr9
	s_waitcnt lgkmcnt(0)
	v_or_b32_e32 v5, s21, v7
	v_cmp_ne_u64_e32 vcc, 0, v[4:5]
	s_and_saveexec_b64 s[2:3], vcc
	s_xor_b64 s[22:23], exec, s[2:3]
	s_cbranch_execz .LBB0_4
; %bb.3:                                ;   in Loop: Header=BB0_2 Depth=1
	v_cvt_f32_u32_e32 v1, s20
	v_cvt_f32_u32_e32 v5, s21
	s_sub_u32 s2, 0, s20
	s_subb_u32 s3, 0, s21
	v_fmac_f32_e32 v1, 0x4f800000, v5
	v_rcp_f32_e32 v1, v1
	s_nop 0
	v_mul_f32_e32 v1, 0x5f7ffffc, v1
	v_mul_f32_e32 v5, 0x2f800000, v1
	v_trunc_f32_e32 v5, v5
	v_fmac_f32_e32 v1, 0xcf800000, v5
	v_cvt_u32_f32_e32 v5, v5
	v_cvt_u32_f32_e32 v1, v1
	v_mul_lo_u32 v8, s2, v5
	v_mul_hi_u32 v10, s2, v1
	v_mul_lo_u32 v9, s3, v1
	v_add_u32_e32 v10, v10, v8
	v_mul_lo_u32 v12, s2, v1
	v_add_u32_e32 v13, v10, v9
	v_mul_hi_u32 v8, v1, v12
	v_mul_hi_u32 v11, v1, v13
	v_mul_lo_u32 v10, v1, v13
	v_mov_b32_e32 v9, v4
	v_lshl_add_u64 v[8:9], v[8:9], 0, v[10:11]
	v_mul_hi_u32 v11, v5, v12
	v_mul_lo_u32 v12, v5, v12
	v_add_co_u32_e32 v8, vcc, v8, v12
	v_mul_hi_u32 v10, v5, v13
	s_nop 0
	v_addc_co_u32_e32 v8, vcc, v9, v11, vcc
	v_mov_b32_e32 v9, v4
	s_nop 0
	v_addc_co_u32_e32 v11, vcc, 0, v10, vcc
	v_mul_lo_u32 v10, v5, v13
	v_lshl_add_u64 v[8:9], v[8:9], 0, v[10:11]
	v_add_co_u32_e32 v1, vcc, v1, v8
	v_mul_lo_u32 v10, s2, v1
	s_nop 0
	v_addc_co_u32_e32 v5, vcc, v5, v9, vcc
	v_mul_lo_u32 v8, s2, v5
	v_mul_hi_u32 v9, s2, v1
	v_add_u32_e32 v8, v9, v8
	v_mul_lo_u32 v9, s3, v1
	v_add_u32_e32 v12, v8, v9
	v_mul_hi_u32 v14, v5, v10
	v_mul_lo_u32 v15, v5, v10
	v_mul_hi_u32 v9, v1, v12
	v_mul_lo_u32 v8, v1, v12
	v_mul_hi_u32 v10, v1, v10
	v_mov_b32_e32 v11, v4
	v_lshl_add_u64 v[8:9], v[10:11], 0, v[8:9]
	v_add_co_u32_e32 v8, vcc, v8, v15
	v_mul_hi_u32 v13, v5, v12
	s_nop 0
	v_addc_co_u32_e32 v8, vcc, v9, v14, vcc
	v_mul_lo_u32 v10, v5, v12
	s_nop 0
	v_addc_co_u32_e32 v11, vcc, 0, v13, vcc
	v_mov_b32_e32 v9, v4
	v_lshl_add_u64 v[8:9], v[8:9], 0, v[10:11]
	v_add_co_u32_e32 v1, vcc, v1, v8
	v_mul_hi_u32 v10, v6, v1
	s_nop 0
	v_addc_co_u32_e32 v5, vcc, v5, v9, vcc
	v_mad_u64_u32 v[8:9], s[2:3], v6, v5, 0
	v_mov_b32_e32 v11, v4
	v_lshl_add_u64 v[8:9], v[10:11], 0, v[8:9]
	v_mad_u64_u32 v[12:13], s[2:3], v7, v1, 0
	v_add_co_u32_e32 v1, vcc, v8, v12
	v_mad_u64_u32 v[10:11], s[2:3], v7, v5, 0
	s_nop 0
	v_addc_co_u32_e32 v8, vcc, v9, v13, vcc
	v_mov_b32_e32 v9, v4
	s_nop 0
	v_addc_co_u32_e32 v11, vcc, 0, v11, vcc
	v_lshl_add_u64 v[8:9], v[8:9], 0, v[10:11]
	v_mul_lo_u32 v1, s21, v8
	v_mul_lo_u32 v5, s20, v9
	v_mad_u64_u32 v[10:11], s[2:3], s20, v8, 0
	v_add3_u32 v1, v11, v5, v1
	v_sub_u32_e32 v5, v7, v1
	v_mov_b32_e32 v11, s21
	v_sub_co_u32_e32 v14, vcc, v6, v10
	v_lshl_add_u64 v[12:13], v[8:9], 0, 1
	s_nop 0
	v_subb_co_u32_e64 v5, s[2:3], v5, v11, vcc
	v_subrev_co_u32_e64 v10, s[2:3], s20, v14
	v_subb_co_u32_e32 v1, vcc, v7, v1, vcc
	s_nop 0
	v_subbrev_co_u32_e64 v5, s[2:3], 0, v5, s[2:3]
	v_cmp_le_u32_e64 s[2:3], s21, v5
	v_cmp_le_u32_e32 vcc, s21, v1
	s_nop 0
	v_cndmask_b32_e64 v11, 0, -1, s[2:3]
	v_cmp_le_u32_e64 s[2:3], s20, v10
	s_nop 1
	v_cndmask_b32_e64 v10, 0, -1, s[2:3]
	v_cmp_eq_u32_e64 s[2:3], s21, v5
	s_nop 1
	v_cndmask_b32_e64 v5, v11, v10, s[2:3]
	v_lshl_add_u64 v[10:11], v[8:9], 0, 2
	v_cmp_ne_u32_e64 s[2:3], 0, v5
	s_nop 1
	v_cndmask_b32_e64 v5, v13, v11, s[2:3]
	v_cndmask_b32_e64 v11, 0, -1, vcc
	v_cmp_le_u32_e32 vcc, s20, v14
	s_nop 1
	v_cndmask_b32_e64 v13, 0, -1, vcc
	v_cmp_eq_u32_e32 vcc, s21, v1
	s_nop 1
	v_cndmask_b32_e32 v1, v11, v13, vcc
	v_cmp_ne_u32_e32 vcc, 0, v1
	v_cndmask_b32_e64 v1, v12, v10, s[2:3]
	s_nop 0
	v_cndmask_b32_e32 v9, v9, v5, vcc
	v_cndmask_b32_e32 v8, v8, v1, vcc
.LBB0_4:                                ;   in Loop: Header=BB0_2 Depth=1
	s_andn2_saveexec_b64 s[2:3], s[22:23]
	s_cbranch_execz .LBB0_6
; %bb.5:                                ;   in Loop: Header=BB0_2 Depth=1
	v_cvt_f32_u32_e32 v1, s20
	s_sub_i32 s22, 0, s20
	v_rcp_iflag_f32_e32 v1, v1
	s_nop 0
	v_mul_f32_e32 v1, 0x4f7ffffe, v1
	v_cvt_u32_f32_e32 v1, v1
	v_mul_lo_u32 v5, s22, v1
	v_mul_hi_u32 v5, v1, v5
	v_add_u32_e32 v1, v1, v5
	v_mul_hi_u32 v1, v6, v1
	v_mul_lo_u32 v5, v1, s20
	v_sub_u32_e32 v5, v6, v5
	v_add_u32_e32 v8, 1, v1
	v_subrev_u32_e32 v9, s20, v5
	v_cmp_le_u32_e32 vcc, s20, v5
	s_nop 1
	v_cndmask_b32_e32 v5, v5, v9, vcc
	v_cndmask_b32_e32 v1, v1, v8, vcc
	v_add_u32_e32 v8, 1, v1
	v_cmp_le_u32_e32 vcc, s20, v5
	v_mov_b32_e32 v9, v4
	s_nop 0
	v_cndmask_b32_e32 v8, v1, v8, vcc
.LBB0_6:                                ;   in Loop: Header=BB0_2 Depth=1
	s_or_b64 exec, exec, s[2:3]
	v_mad_u64_u32 v[10:11], s[2:3], v8, s20, 0
	s_load_dwordx2 s[2:3], s[14:15], 0x0
	v_mul_lo_u32 v1, v9, s20
	v_mul_lo_u32 v5, v8, s21
	v_add3_u32 v1, v11, v5, v1
	v_sub_co_u32_e32 v5, vcc, v6, v10
	s_add_u32 s16, s16, 1
	s_nop 0
	v_subb_co_u32_e32 v1, vcc, v7, v1, vcc
	s_addc_u32 s17, s17, 0
	s_waitcnt lgkmcnt(0)
	v_mul_lo_u32 v1, s2, v1
	v_mul_lo_u32 v6, s3, v5
	v_mad_u64_u32 v[2:3], s[2:3], s2, v5, v[2:3]
	s_add_u32 s14, s14, 8
	v_add3_u32 v3, v6, v3, v1
	s_addc_u32 s15, s15, 0
	v_mov_b64_e32 v[6:7], s[10:11]
	s_add_u32 s18, s18, 8
	v_cmp_ge_u64_e32 vcc, s[16:17], v[6:7]
	s_addc_u32 s19, s19, 0
	s_cbranch_vccnz .LBB0_9
; %bb.7:                                ;   in Loop: Header=BB0_2 Depth=1
	v_mov_b64_e32 v[6:7], v[8:9]
	s_branch .LBB0_2
.LBB0_8:
	v_mov_b64_e32 v[8:9], v[6:7]
.LBB0_9:
	s_lshl_b64 s[2:3], s[10:11], 3
	s_add_u32 s2, s12, s2
	s_addc_u32 s3, s13, s3
	s_load_dwordx2 s[10:11], s[2:3], 0x0
	s_load_dwordx2 s[12:13], s[0:1], 0x20
	s_mov_b32 s2, 0x25ed098
                                        ; implicit-def: $vgpr70
                                        ; implicit-def: $vgpr69
                                        ; implicit-def: $vgpr67
                                        ; implicit-def: $vgpr68
	s_waitcnt lgkmcnt(0)
	v_mul_lo_u32 v1, s10, v9
	v_mul_lo_u32 v4, s11, v8
	v_mad_u64_u32 v[2:3], s[0:1], s10, v8, v[2:3]
	v_add3_u32 v3, v4, v3, v1
	v_mul_hi_u32 v1, v0, s2
	v_mul_u32_u24_e32 v1, 0x6c, v1
	v_cmp_gt_u64_e32 vcc, s[12:13], v[8:9]
	v_cmp_le_u64_e64 s[0:1], s[12:13], v[8:9]
	v_sub_u32_e32 v66, v0, v1
                                        ; implicit-def: $sgpr10
	s_and_saveexec_b64 s[2:3], s[0:1]
	s_xor_b64 s[0:1], exec, s[2:3]
; %bb.10:
	v_add_u32_e32 v70, 0x6c, v66
	v_add_u32_e32 v69, 0xd8, v66
	;; [unrolled: 1-line block ×4, first 2 shown]
	s_mov_b32 s10, 0
; %bb.11:
	s_or_saveexec_b64 s[2:3], s[0:1]
	v_mov_b32_e32 v64, s10
	v_lshl_add_u64 v[28:29], v[2:3], 3, s[4:5]
                                        ; implicit-def: $vgpr49
                                        ; implicit-def: $vgpr22
                                        ; implicit-def: $vgpr47
                                        ; implicit-def: $vgpr43
                                        ; implicit-def: $vgpr44
                                        ; implicit-def: $vgpr10
                                        ; implicit-def: $vgpr6
                                        ; implicit-def: $vgpr62
                                        ; implicit-def: $vgpr12
                                        ; implicit-def: $vgpr4
                                        ; implicit-def: $vgpr18
                                        ; implicit-def: $vgpr60
                                        ; implicit-def: $vgpr20
                                        ; implicit-def: $vgpr16
                                        ; implicit-def: $vgpr14
                                        ; implicit-def: $vgpr58
                                        ; implicit-def: $vgpr34
                                        ; implicit-def: $vgpr30
                                        ; implicit-def: $vgpr26
                                        ; implicit-def: $vgpr56
                                        ; implicit-def: $vgpr32
                                        ; implicit-def: $vgpr36
                                        ; implicit-def: $vgpr54
	s_xor_b64 exec, exec, s[2:3]
	s_cbranch_execz .LBB0_15
; %bb.12:
	v_mad_u64_u32 v[0:1], s[0:1], s6, v66, 0
	v_mov_b32_e32 v2, v1
	v_mad_u64_u32 v[2:3], s[0:1], s7, v66, v[2:3]
	v_add_u32_e32 v5, 0x240, v66
	v_mov_b32_e32 v1, v2
	v_mad_u64_u32 v[2:3], s[0:1], s6, v5, 0
	v_mov_b32_e32 v4, v3
	v_mad_u64_u32 v[4:5], s[0:1], s7, v5, v[4:5]
	v_or_b32_e32 v7, 0x480, v66
	v_mov_b32_e32 v3, v4
	v_mad_u64_u32 v[4:5], s[0:1], s6, v7, 0
	v_mov_b32_e32 v6, v5
	v_mad_u64_u32 v[6:7], s[0:1], s7, v7, v[6:7]
	v_mov_b32_e32 v5, v6
	v_add_u32_e32 v70, 0x6c, v66
	v_lshl_add_u64 v[8:9], v[4:5], 3, v[28:29]
	v_mad_u64_u32 v[4:5], s[0:1], s6, v70, 0
	v_mov_b32_e32 v6, v5
	v_mad_u64_u32 v[6:7], s[0:1], s7, v70, v[6:7]
	v_lshl_add_u64 v[0:1], v[0:1], 3, v[28:29]
	v_lshl_add_u64 v[2:3], v[2:3], 3, v[28:29]
	v_mov_b32_e32 v5, v6
	v_lshl_add_u64 v[14:15], v[4:5], 3, v[28:29]
	global_load_dwordx2 v[10:11], v[0:1], off
	global_load_dwordx2 v[6:7], v[2:3], off
	;; [unrolled: 1-line block ×4, first 2 shown]
	v_add_u32_e32 v3, 0x2ac, v66
	v_mad_u64_u32 v[0:1], s[0:1], s6, v3, 0
	v_mov_b32_e32 v2, v1
	v_mad_u64_u32 v[2:3], s[0:1], s7, v3, v[2:3]
	v_add_u32_e32 v9, 0x4ec, v66
	v_mov_b32_e32 v1, v2
	v_mad_u64_u32 v[2:3], s[0:1], s6, v9, 0
	v_mov_b32_e32 v8, v3
	v_mad_u64_u32 v[8:9], s[0:1], s7, v9, v[8:9]
	v_add_u32_e32 v69, 0xd8, v66
	v_mov_b32_e32 v3, v8
	;; [unrolled: 5-line block ×3, first 2 shown]
	v_mad_u64_u32 v[14:15], s[0:1], s6, v17, 0
	v_mov_b32_e32 v16, v15
	v_mad_u64_u32 v[16:17], s[0:1], s7, v17, v[16:17]
	v_lshl_add_u64 v[0:1], v[0:1], 3, v[28:29]
	v_lshl_add_u64 v[2:3], v[2:3], 3, v[28:29]
	v_mov_b32_e32 v15, v16
	v_lshl_add_u64 v[8:9], v[8:9], 3, v[28:29]
	v_lshl_add_u64 v[22:23], v[14:15], 3, v[28:29]
	global_load_dwordx2 v[18:19], v[0:1], off
	global_load_dwordx2 v[20:21], v[2:3], off
	;; [unrolled: 1-line block ×4, first 2 shown]
	v_add_u32_e32 v3, 0x558, v66
	v_mad_u64_u32 v[0:1], s[0:1], s6, v3, 0
	v_mov_b32_e32 v2, v1
	v_mad_u64_u32 v[2:3], s[0:1], s7, v3, v[2:3]
	v_add_u32_e32 v67, 0x144, v66
	v_mov_b32_e32 v1, v2
	v_mad_u64_u32 v[2:3], s[0:1], s6, v67, 0
	v_mov_b32_e32 v8, v3
	v_mad_u64_u32 v[8:9], s[0:1], s7, v67, v[8:9]
	v_add_u32_e32 v23, 0x384, v66
	v_mov_b32_e32 v3, v8
	;; [unrolled: 5-line block ×3, first 2 shown]
	v_mad_u64_u32 v[22:23], s[0:1], s6, v25, 0
	v_mov_b32_e32 v24, v23
	v_mad_u64_u32 v[24:25], s[0:1], s7, v25, v[24:25]
	v_lshl_add_u64 v[0:1], v[0:1], 3, v[28:29]
	v_mov_b32_e32 v23, v24
	v_add_u32_e32 v68, 0x1b0, v66
	v_lshl_add_u64 v[2:3], v[2:3], 3, v[28:29]
	v_lshl_add_u64 v[8:9], v[8:9], 3, v[28:29]
	;; [unrolled: 1-line block ×3, first 2 shown]
	global_load_dwordx2 v[34:35], v[0:1], off
	global_load_dwordx2 v[30:31], v[2:3], off
	global_load_dwordx2 v[26:27], v[8:9], off
	global_load_dwordx2 v[32:33], v[22:23], off
	v_mad_u64_u32 v[0:1], s[0:1], s6, v68, 0
	v_mov_b32_e32 v2, v1
	v_mad_u64_u32 v[2:3], s[0:1], s7, v68, v[2:3]
	v_mov_b32_e32 v1, v2
	v_add_u32_e32 v3, 0x3f0, v66
	v_lshl_add_u64 v[8:9], v[0:1], 3, v[28:29]
	v_mad_u64_u32 v[0:1], s[0:1], s6, v3, 0
	v_mov_b32_e32 v2, v1
	v_mad_u64_u32 v[2:3], s[0:1], s7, v3, v[2:3]
	v_mov_b32_e32 v1, v2
	v_add_u32_e32 v3, 0x630, v66
	v_lshl_add_u64 v[22:23], v[0:1], 3, v[28:29]
	v_mad_u64_u32 v[0:1], s[0:1], s6, v3, 0
	v_mov_b32_e32 v2, v1
	v_mad_u64_u32 v[2:3], s[0:1], s7, v3, v[2:3]
	v_mov_b32_e32 v1, v2
	v_lshl_add_u64 v[24:25], v[0:1], 3, v[28:29]
	global_load_dwordx2 v[36:37], v[8:9], off
	global_load_dwordx2 v[2:3], v[22:23], off
	;; [unrolled: 1-line block ×3, first 2 shown]
	v_cmp_gt_u32_e64 s[0:1], 36, v66
                                        ; implicit-def: $vgpr45
                                        ; implicit-def: $vgpr43
                                        ; implicit-def: $vgpr47
                                        ; implicit-def: $vgpr22
                                        ; implicit-def: $vgpr49
	s_and_saveexec_b64 s[4:5], s[0:1]
	s_cbranch_execz .LBB0_14
; %bb.13:
	v_add_u32_e32 v23, 0x21c, v66
	v_mad_u64_u32 v[8:9], s[0:1], s6, v23, 0
	v_mov_b32_e32 v22, v9
	v_mad_u64_u32 v[22:23], s[0:1], s7, v23, v[22:23]
	v_add_u32_e32 v25, 0x45c, v66
	v_mov_b32_e32 v9, v22
	v_mad_u64_u32 v[22:23], s[0:1], s6, v25, 0
	v_mov_b32_e32 v24, v23
	v_mad_u64_u32 v[24:25], s[0:1], s7, v25, v[24:25]
	v_add_u32_e32 v39, 0x69c, v66
	v_mov_b32_e32 v23, v24
	v_mad_u64_u32 v[24:25], s[0:1], s6, v39, 0
	v_mov_b32_e32 v38, v25
	v_mad_u64_u32 v[38:39], s[0:1], s7, v39, v[38:39]
	v_lshl_add_u64 v[22:23], v[22:23], 3, v[28:29]
	v_mov_b32_e32 v25, v38
	v_lshl_add_u64 v[24:25], v[24:25], 3, v[28:29]
	global_load_dwordx2 v[42:43], v[22:23], off
	global_load_dwordx2 v[38:39], v[24:25], off
	v_lshl_add_u64 v[8:9], v[8:9], 3, v[28:29]
	global_load_dwordx2 v[44:45], v[8:9], off
	s_waitcnt vmcnt(2)
	v_mov_b32_e32 v47, v42
	s_waitcnt vmcnt(1)
	v_mov_b32_e32 v22, v39
	v_mov_b32_e32 v49, v38
.LBB0_14:
	s_or_b64 exec, exec, s[4:5]
	v_mov_b32_e32 v64, v66
	s_waitcnt vmcnt(13)
	v_mov_b32_e32 v62, v7
	s_waitcnt vmcnt(12)
	;; [unrolled: 2-line block ×9, first 2 shown]
	v_mov_b32_e32 v48, v2
	v_mov_b32_e32 v54, v3
	s_waitcnt vmcnt(0)
	v_mov_b32_e32 v46, v0
	v_mov_b32_e32 v55, v1
.LBB0_15:
	s_or_b64 exec, exec, s[2:3]
	v_add_f32_e32 v0, v12, v6
	v_mul_f32_e32 v7, 0.5, v0
	v_add_f32_e32 v0, v20, v18
	v_sub_f32_e32 v8, v62, v63
	v_mul_f32_e32 v19, 0.5, v0
	v_add_f32_e32 v0, v34, v14
	v_mul_f32_e32 v13, 0x3f5db3d7, v8
	v_mul_f32_e32 v15, 0.5, v0
	v_pk_add_f32 v[0:1], v[10:11], v[6:7] op_sel_hi:[0,1] neg_lo:[0,1] neg_hi:[0,1]
	v_pk_add_f32 v[2:3], v[0:1], v[12:13] neg_lo:[0,1] neg_hi:[0,1]
	v_fmac_f32_e32 v1, 0x3f5db3d7, v8
	v_pk_add_f32 v[8:9], v[10:11], v[6:7]
	v_sub_f32_e32 v23, v60, v61
	v_mad_u32_u24 v73, v66, 12, 0
	v_pk_add_f32 v[8:9], v[8:9], v[12:13]
	v_mul_f32_e32 v21, 0x3f5db3d7, v23
	ds_write2_b32 v73, v8, v3 offset1:1
	ds_write_b32 v73, v1 offset:8
	v_pk_add_f32 v[0:1], v[4:5], v[18:19] op_sel_hi:[0,1] neg_lo:[0,1] neg_hi:[0,1]
	v_pk_add_f32 v[8:9], v[4:5], v[18:19]
	v_sub_f32_e32 v24, v58, v59
	v_mad_i32_i24 v72, v70, 12, 0
	v_pk_add_f32 v[2:3], v[0:1], v[20:21] neg_lo:[0,1] neg_hi:[0,1]
	v_fmac_f32_e32 v1, 0x3f5db3d7, v23
	v_pk_add_f32 v[8:9], v[8:9], v[20:21]
	v_mul_f32_e32 v35, 0x3f5db3d7, v24
	ds_write2_b32 v72, v8, v3 offset1:1
	ds_write_b32 v72, v1 offset:8
	v_pk_add_f32 v[0:1], v[16:17], v[14:15]
	v_pk_add_f32 v[2:3], v[16:17], v[14:15] op_sel_hi:[0,1] neg_lo:[0,1] neg_hi:[0,1]
	v_pk_add_f32 v[0:1], v[0:1], v[34:35]
	v_pk_add_f32 v[8:9], v[2:3], v[34:35] neg_lo:[0,1] neg_hi:[0,1]
	v_mad_i32_i24 v71, v69, 12, 0
	ds_write2_b32 v71, v0, v9 offset1:1
	v_add_f32_e32 v0, v32, v26
	v_mul_f32_e32 v27, 0.5, v0
	v_sub_f32_e32 v7, v56, v57
	v_fmac_f32_e32 v3, 0x3f5db3d7, v24
	v_mul_f32_e32 v33, 0x3f5db3d7, v7
	ds_write_b32 v71, v3 offset:8
	v_pk_add_f32 v[0:1], v[30:31], v[26:27]
	v_pk_add_f32 v[2:3], v[30:31], v[26:27] op_sel_hi:[0,1] neg_lo:[0,1] neg_hi:[0,1]
	v_pk_add_f32 v[0:1], v[0:1], v[32:33]
	v_pk_add_f32 v[8:9], v[2:3], v[32:33] neg_lo:[0,1] neg_hi:[0,1]
	v_mad_i32_i24 v2, v67, 12, 0
	v_fmac_f32_e32 v3, 0x3f5db3d7, v7
	ds_write2_b32 v2, v0, v9 offset1:1
	ds_write_b32 v2, v3 offset:8
	v_pk_add_f32 v[2:3], v[48:49], v[46:47]
	v_mov_b32_e32 v8, v36
	v_mov_b32_e32 v9, v44
	v_pk_fma_f32 v[24:25], -0.5, v[2:3], v[8:9] op_sel_hi:[0,1,1]
	v_mov_b32_e32 v42, v54
	v_mov_b32_e32 v2, v55
	;; [unrolled: 1-line block ×3, first 2 shown]
	s_mov_b32 s0, 0x3f5db3d7
	v_pk_add_f32 v[8:9], v[42:43], v[2:3] neg_lo:[0,1] neg_hi:[0,1]
	v_pk_add_f32 v[0:1], v[48:49], v[36:37]
	v_pk_mul_f32 v[2:3], v[8:9], s[0:1] op_sel_hi:[1,0]
	v_add_f32_e32 v7, v47, v44
	v_mov_b32_e32 v1, v3
	v_pk_fma_f32 v[2:3], v[8:9], s[0:1], v[24:25] op_sel_hi:[1,0,1] neg_lo:[1,0,0] neg_hi:[1,0,0]
	v_pk_fma_f32 v[8:9], v[8:9], s[0:1], v[24:25] op_sel_hi:[1,0,1]
	v_mov_b32_e32 v24, v46
	v_pk_add_f32 v[0:1], v[0:1], v[24:25]
	v_mad_i32_i24 v9, v68, 12, 0
	ds_write2_b32 v9, v0, v2 offset1:1
	ds_write_b32 v9, v8 offset:8
	v_add_f32_e32 v35, v49, v7
	v_mov_b32_e32 v9, v3
	v_cmp_lt_u32_e64 s[4:5], 35, v66
	v_cmp_gt_u32_e64 s[0:1], 36, v66
	s_and_saveexec_b64 s[2:3], s[0:1]
	s_cbranch_execz .LBB0_17
; %bb.16:
	v_add_u32_e32 v7, 0x1954, v73
	ds_write_b32 v73, v35 offset:6480
	v_mov_b32_e32 v3, v1
	ds_write2_b32 v7, v9, v1 offset1:1
.LBB0_17:
	s_or_b64 exec, exec, s[2:3]
	v_lshlrev_b32_e32 v3, 3, v66
	v_sub_u32_e32 v65, v73, v3
	v_add_u32_e32 v3, 0x400, v65
	s_waitcnt lgkmcnt(0)
	s_barrier
	ds_read2_b32 v[52:53], v3 offset0:32 offset1:140
	v_add_u32_e32 v3, 0x800, v65
	ds_read2_b32 v[50:51], v3 offset0:64 offset1:172
	v_add_u32_e32 v3, 0xc00, v65
	;; [unrolled: 2-line block ×4, first 2 shown]
	v_lshlrev_b32_e32 v13, 3, v70
	ds_read2_b32 v[24:25], v3 offset0:32 offset1:140
	v_sub_u32_e32 v7, v72, v13
	ds_read_b32 v3, v65
	ds_read_b32 v33, v7
	s_movk_i32 s0, 0x48
	s_movk_i32 s2, 0x47
	v_cmp_gt_u32_e64 s[0:1], s0, v66
	v_cmp_lt_u32_e64 s[2:3], s2, v66
	s_and_saveexec_b64 s[10:11], s[2:3]
	s_xor_b64 s[10:11], exec, s[10:11]
	s_or_saveexec_b64 s[10:11], s[10:11]
	v_mul_i32_i24_e32 v19, 12, v67
	v_mul_i32_i24_e32 v15, 12, v68
	v_lshlrev_b32_e32 v42, 3, v69
	s_xor_b64 exec, exec, s[10:11]
	s_cbranch_execz .LBB0_19
; %bb.18:
	v_sub_u32_e32 v0, v71, v42
	ds_read_b32 v2, v65 offset:2016
	ds_read_b32 v8, v65 offset:3168
	;; [unrolled: 1-line block ×4, first 2 shown]
	ds_read_b32 v0, v0
	ds_read_b32 v1, v65 offset:6624
.LBB0_19:
	s_or_b64 exec, exec, s[10:11]
	v_add_f32_e32 v7, v63, v62
	v_mul_f32_e32 v75, 0.5, v7
	v_mov_b32_e32 v74, v62
	v_pk_add_f32 v[76:77], v[10:11], v[62:63] op_sel:[1,0]
	v_pk_add_f32 v[74:75], v[10:11], v[74:75] op_sel:[1,0] neg_lo:[0,1] neg_hi:[0,1]
	v_sub_f32_e32 v10, v6, v12
	v_mov_b32_e32 v77, v75
	v_mul_f32_e32 v7, 0x3f5db3d7, v10
	v_mov_b32_e32 v6, v63
	v_pk_add_f32 v[62:63], v[76:77], v[6:7]
	v_add_f32_e32 v6, v61, v60
	v_mul_f32_e32 v7, 0.5, v6
	v_mov_b32_e32 v6, v60
	v_fmac_f32_e32 v75, 0xbf5db3d7, v10
	v_pk_add_f32 v[10:11], v[4:5], v[60:61] op_sel:[1,0]
	v_pk_add_f32 v[76:77], v[4:5], v[6:7] op_sel:[1,0] neg_lo:[0,1] neg_hi:[0,1]
	v_sub_f32_e32 v6, v18, v20
	v_mov_b32_e32 v11, v77
	v_mul_f32_e32 v5, 0x3f5db3d7, v6
	v_mov_b32_e32 v4, v61
	v_pk_add_f32 v[20:21], v[10:11], v[4:5]
	v_add_f32_e32 v4, v59, v58
	v_mul_f32_e32 v5, 0.5, v4
	v_mov_b32_e32 v4, v58
	v_fmac_f32_e32 v77, 0xbf5db3d7, v6
	v_pk_add_f32 v[6:7], v[16:17], v[58:59] op_sel:[1,0]
	v_pk_add_f32 v[16:17], v[16:17], v[4:5] op_sel:[1,0] neg_lo:[0,1] neg_hi:[0,1]
	v_sub_f32_e32 v10, v14, v34
	v_mov_b32_e32 v7, v17
	v_mul_f32_e32 v5, 0x3f5db3d7, v10
	v_mov_b32_e32 v4, v59
	v_pk_add_f32 v[58:59], v[6:7], v[4:5]
	v_add_f32_e32 v4, v57, v56
	v_mul_f32_e32 v5, 0.5, v4
	v_mov_b32_e32 v4, v56
	v_fmac_f32_e32 v17, 0xbf5db3d7, v10
	v_pk_add_f32 v[6:7], v[30:31], v[56:57] op_sel:[1,0]
	v_pk_add_f32 v[30:31], v[30:31], v[4:5] op_sel:[1,0] neg_lo:[0,1] neg_hi:[0,1]
	v_sub_f32_e32 v10, v26, v32
	v_mov_b32_e32 v7, v31
	v_mul_f32_e32 v5, 0x3f5db3d7, v10
	v_mov_b32_e32 v4, v57
	v_pk_add_f32 v[26:27], v[6:7], v[4:5]
	v_add_f32_e32 v4, v55, v54
	v_mul_f32_e32 v5, 0.5, v4
	v_mov_b32_e32 v4, v54
	v_fmac_f32_e32 v31, 0xbf5db3d7, v10
	v_pk_add_f32 v[10:11], v[36:37], v[54:55] op_sel:[1,0]
	v_pk_add_f32 v[36:37], v[36:37], v[4:5] neg_lo:[0,1] neg_hi:[0,1]
	v_add_f32_e32 v4, v22, v43
	v_mul_f32_e32 v5, 0.5, v4
	v_mov_b32_e32 v4, v43
	v_mov_b32_e32 v6, v43
	v_pk_add_f32 v[56:57], v[44:45], v[4:5] neg_lo:[0,1] neg_hi:[0,1]
	v_mov_b32_e32 v4, v48
	v_mov_b32_e32 v5, v47
	;; [unrolled: 1-line block ×3, first 2 shown]
	s_mov_b32 s10, 0x3f5db3d7
	v_pk_add_f32 v[6:7], v[44:45], v[6:7] op_sel:[1,0]
	v_pk_add_f32 v[44:45], v[4:5], v[46:47] neg_lo:[0,1] neg_hi:[0,1]
	v_mov_b32_e32 v11, v37
	v_pk_mul_f32 v[46:47], v[44:45], s[10:11] op_sel_hi:[1,0]
	v_mov_b32_e32 v4, v55
	v_mov_b32_e32 v5, v46
	;; [unrolled: 1-line block ×3, first 2 shown]
	v_add_u32_e32 v12, 0, v19
	v_pk_add_f32 v[4:5], v[10:11], v[4:5]
	v_pk_fma_f32 v[10:11], v[44:45], s[10:11], v[56:57] op_sel_hi:[1,0,1] neg_lo:[1,0,0] neg_hi:[1,0,0]
	s_waitcnt lgkmcnt(0)
	s_barrier
	ds_write2_b32 v73, v62, v63 offset1:1
	ds_write_b32 v73, v75 offset:8
	ds_write2_b32 v72, v20, v21 offset1:1
	ds_write_b32 v72, v77 offset:8
	;; [unrolled: 2-line block ×4, first 2 shown]
	v_add_u32_e32 v12, 0, v15
	v_mov_b32_e32 v7, v57
	v_mov_b32_e32 v23, v47
	ds_write2_b32 v12, v4, v5 offset1:1
	ds_write_b32 v12, v10 offset:8
	s_and_saveexec_b64 s[10:11], s[4:5]
	s_xor_b64 s[4:5], exec, s[10:11]
	s_or_saveexec_b64 s[4:5], s[4:5]
	v_sub_u32_e32 v16, 0, v13
	v_pk_add_f32 v[12:13], v[22:23], v[6:7]
	s_xor_b64 exec, exec, s[4:5]
	s_cbranch_execz .LBB0_21
; %bb.20:
	v_add_u32_e32 v6, 0x21c, v66
	v_mad_u32_u24 v6, v6, 12, 0
	ds_write2_b32 v6, v12, v13 offset1:1
	ds_write_b32 v6, v11 offset:8
.LBB0_21:
	s_or_b64 exec, exec, s[4:5]
	v_add_u32_e32 v6, 0x400, v65
	s_waitcnt lgkmcnt(0)
	s_barrier
	ds_read2_b32 v[26:27], v6 offset0:32 offset1:140
	v_add_u32_e32 v6, 0x800, v65
	ds_read2_b32 v[22:23], v6 offset0:64 offset1:172
	v_add_u32_e32 v6, 0xc00, v65
	;; [unrolled: 2-line block ×5, first 2 shown]
	ds_read_b32 v32, v65
	ds_read_b32 v30, v31
                                        ; implicit-def: $vgpr7
                                        ; implicit-def: $vgpr16_vgpr17
	s_and_saveexec_b64 s[4:5], s[2:3]
	s_xor_b64 s[4:5], exec, s[4:5]
; %bb.22:
	v_mov_b32_e32 v7, v4
	v_mov_b64_e32 v[16:17], v[10:11]
                                        ; implicit-def: $vgpr71
                                        ; implicit-def: $vgpr42
; %bb.23:
	s_andn2_saveexec_b64 s[4:5], s[4:5]
	s_cbranch_execz .LBB0_25
; %bb.24:
	v_sub_u32_e32 v4, v71, v42
	ds_read_b32 v5, v65 offset:2016
	ds_read_b32 v16, v65 offset:3168
	ds_read_b32 v12, v65 offset:4320
	ds_read_b32 v13, v65 offset:5472
	ds_read_b32 v4, v4
	ds_read_b32 v11, v65 offset:6624
	s_waitcnt lgkmcnt(4)
	v_mov_b32_e32 v10, v16
	s_waitcnt lgkmcnt(1)
	v_mov_b32_e32 v7, v4
.LBB0_25:
	s_or_b64 exec, exec, s[4:5]
	s_movk_i32 s4, 0xab
	v_mul_lo_u16_sdwa v6, v66, s4 dst_sel:DWORD dst_unused:UNUSED_PAD src0_sel:BYTE_0 src1_sel:DWORD
	v_lshrrev_b16_e32 v36, 9, v6
	v_mul_lo_u16_sdwa v34, v70, s4 dst_sel:DWORD dst_unused:UNUSED_PAD src0_sel:BYTE_0 src1_sel:DWORD
	v_mul_lo_u16_e32 v6, 3, v36
	v_lshrrev_b16_e32 v82, 9, v34
	v_sub_u16_e32 v71, v66, v6
	v_mov_b32_e32 v6, 5
	v_mul_lo_u16_e32 v34, 3, v82
	v_mul_u32_u24_sdwa v17, v71, v6 dst_sel:DWORD dst_unused:UNUSED_PAD src0_sel:BYTE_0 src1_sel:DWORD
	v_sub_u16_e32 v83, v70, v34
	v_lshlrev_b32_e32 v17, 3, v17
	v_mul_u32_u24_sdwa v6, v83, v6 dst_sel:DWORD dst_unused:UNUSED_PAD src0_sel:BYTE_0 src1_sel:DWORD
	global_load_dwordx4 v[46:49], v17, s[8:9]
	global_load_dwordx4 v[58:61], v17, s[8:9] offset:16
	v_lshlrev_b32_e32 v6, 3, v6
	global_load_dwordx4 v[54:57], v6, s[8:9]
	global_load_dwordx4 v[72:75], v6, s[8:9] offset:16
	s_mov_b32 s4, 0xaaab
	v_mul_u32_u24_sdwa v34, v69, s4 dst_sel:DWORD dst_unused:UNUSED_PAD src0_sel:WORD_0 src1_sel:DWORD
	v_lshrrev_b32_e32 v34, 17, v34
	v_mul_lo_u16_e32 v37, 3, v34
	v_sub_u16_e32 v37, v69, v37
	v_mul_u32_u24_e32 v42, 5, v37
	global_load_dwordx2 v[62:63], v17, s[8:9] offset:32
	global_load_dwordx2 v[80:81], v6, s[8:9] offset:32
	v_lshlrev_b32_e32 v84, 3, v42
	global_load_dwordx4 v[76:79], v84, s[8:9]
	s_waitcnt vmcnt(6)
	v_mul_f32_e32 v6, v52, v47
	s_waitcnt lgkmcnt(6)
	v_mul_f32_e32 v42, v26, v47
	v_fma_f32 v43, v26, v46, -v6
	s_waitcnt vmcnt(4)
	v_mul_f32_e32 v26, v27, v55
	v_mul_f32_e32 v6, v53, v55
	v_fmac_f32_e32 v42, v52, v46
	v_fmac_f32_e32 v26, v53, v54
	v_fma_f32 v27, v27, v54, -v6
	global_load_dwordx4 v[52:55], v84, s[8:9] offset:16
	s_waitcnt lgkmcnt(5)
	v_mul_f32_e32 v44, v22, v49
	v_mul_f32_e32 v46, v23, v57
	;; [unrolled: 1-line block ×3, first 2 shown]
	v_fmac_f32_e32 v44, v50, v48
	v_fmac_f32_e32 v46, v51, v56
	v_mul_f32_e32 v6, v51, v57
	global_load_dwordx2 v[50:51], v84, s[8:9] offset:32
	v_fma_f32 v23, v23, v56, -v6
	s_waitcnt lgkmcnt(4)
	v_mul_f32_e32 v84, v20, v59
	v_mul_f32_e32 v6, v40, v59
	s_waitcnt lgkmcnt(3)
	v_mul_f32_e32 v47, v18, v61
	v_fma_f32 v45, v22, v48, -v17
	v_mul_f32_e32 v22, v38, v61
	s_waitcnt vmcnt(5)
	v_mul_f32_e32 v61, v21, v73
	v_mul_f32_e32 v49, v41, v73
	v_fmac_f32_e32 v84, v40, v58
	v_fma_f32 v40, v20, v58, -v6
	v_fmac_f32_e32 v47, v38, v60
	v_mul_f32_e32 v38, v19, v75
	v_mul_f32_e32 v6, v39, v75
	s_waitcnt vmcnt(4) lgkmcnt(2)
	v_mul_f32_e32 v73, v14, v63
	v_mul_f32_e32 v20, v24, v63
	s_waitcnt vmcnt(3)
	v_mul_f32_e32 v63, v15, v81
	v_mov_b32_e32 v17, v13
	v_fma_f32 v48, v18, v60, -v22
	v_mul_f32_e32 v22, v25, v81
	v_fmac_f32_e32 v38, v39, v74
	v_fma_f32 v39, v19, v74, -v6
	v_fmac_f32_e32 v73, v24, v62
	v_fmac_f32_e32 v63, v25, v80
	s_waitcnt vmcnt(2)
	v_mov_b32_e32 v24, v79
	v_fmac_f32_e32 v61, v41, v72
	v_fma_f32 v21, v21, v72, -v49
	v_mov_b32_e32 v58, v78
	v_fma_f32 v41, v15, v80, -v22
	v_mul_f32_e32 v18, v8, v79
	v_fma_f32 v49, v14, v62, -v20
	v_add_f32_e32 v14, v84, v73
	v_mul_f32_e32 v57, v5, v77
	v_mul_f32_e32 v56, v5, v76
	v_fmac_f32_e32 v57, v2, v76
	v_mul_f32_e32 v10, v10, v78
	s_waitcnt lgkmcnt(0)
	s_barrier
	s_waitcnt vmcnt(1)
	v_mul_f32_e32 v19, v35, v53
	v_mul_f32_e32 v6, v9, v55
	v_mov_b32_e32 v25, v55
	v_mul_f32_e32 v72, v12, v53
	v_mov_b32_e32 v59, v54
	v_fma_f32 v6, v13, v54, -v6
	v_fma_f32 v22, v12, v52, -v19
	v_pk_mul_f32 v[12:13], v[16:17], v[24:25]
	s_waitcnt vmcnt(0)
	v_mul_f32_e32 v60, v11, v51
	v_pk_fma_f32 v[8:9], v[8:9], v[58:59], v[12:13]
	v_mul_f32_e32 v12, v1, v51
	v_fma_f32 v20, v11, v50, -v12
	v_add_f32_e32 v12, v44, v47
	v_add_f32_e32 v11, v3, v44
	v_fmac_f32_e32 v3, -0.5, v12
	v_sub_f32_e32 v12, v45, v48
	v_fmamk_f32 v13, v12, 0xbf5db3d7, v3
	v_fmac_f32_e32 v3, 0x3f5db3d7, v12
	v_add_f32_e32 v12, v42, v84
	v_fmac_f32_e32 v42, -0.5, v14
	v_sub_f32_e32 v14, v40, v49
	v_fmac_f32_e32 v60, v1, v50
	v_fmamk_f32 v50, v14, 0xbf5db3d7, v42
	v_fmac_f32_e32 v42, 0x3f5db3d7, v14
	v_add_f32_e32 v14, v40, v49
	v_fma_f32 v51, -0.5, v14, v43
	v_sub_f32_e32 v14, v84, v73
	v_fmac_f32_e32 v72, v35, v52
	v_fmamk_f32 v52, v14, 0x3f5db3d7, v51
	v_fmac_f32_e32 v51, 0xbf5db3d7, v14
	v_mul_f32_e32 v15, 0xbf5db3d7, v51
	v_fmac_f32_e32 v15, -0.5, v42
	v_add_f32_e32 v12, v12, v73
	v_add_f32_e32 v73, v3, v15
	v_sub_f32_e32 v76, v3, v15
	v_add_f32_e32 v3, v33, v46
	v_add_f32_e32 v17, v3, v38
	;; [unrolled: 1-line block ×3, first 2 shown]
	v_fmac_f32_e32 v33, -0.5, v3
	v_sub_f32_e32 v3, v23, v39
	v_fmamk_f32 v58, v3, 0xbf5db3d7, v33
	v_fmac_f32_e32 v33, 0x3f5db3d7, v3
	v_add_f32_e32 v3, v26, v61
	v_add_f32_e32 v59, v3, v63
	;; [unrolled: 1-line block ×3, first 2 shown]
	v_fmac_f32_e32 v26, -0.5, v3
	v_sub_f32_e32 v3, v21, v41
	v_fmamk_f32 v53, v3, 0xbf5db3d7, v26
	v_fmac_f32_e32 v26, 0x3f5db3d7, v3
	v_add_f32_e32 v3, v21, v41
	v_mul_f32_e32 v14, 0xbf5db3d7, v52
	v_fma_f32 v54, -0.5, v3, v27
	v_sub_f32_e32 v3, v61, v63
	v_add_f32_e32 v11, v11, v47
	v_fmac_f32_e32 v14, 0.5, v50
	v_fmamk_f32 v55, v3, 0x3f5db3d7, v54
	v_fmac_f32_e32 v54, 0xbf5db3d7, v3
	v_add_f32_e32 v3, v72, v60
	v_add_f32_e32 v35, v11, v12
	;; [unrolled: 1-line block ×3, first 2 shown]
	v_sub_f32_e32 v74, v11, v12
	v_sub_f32_e32 v75, v13, v14
	v_mov_b32_e32 v12, v77
	v_add_f32_e32 v16, v57, v72
	v_fmac_f32_e32 v57, -0.5, v3
	v_mov_b32_e32 v11, v8
	v_mov_b32_e32 v19, v9
	v_sub_f32_e32 v13, v22, v20
	v_mov_b32_e32 v3, 0x3f5db3d7
	v_pk_add_f32 v[24:25], v[10:11], v[18:19] neg_lo:[0,1] neg_hi:[0,1]
	v_pk_mul_f32 v[10:11], v[2:3], v[12:13]
	v_pk_fma_f32 v[2:3], v[2:3], v[12:13], v[56:57] neg_lo:[1,0,0] neg_hi:[1,0,0]
	v_pk_add_f32 v[12:13], v[0:1], v[8:9]
	v_add_f32_e32 v1, v8, v9
	v_fmac_f32_e32 v0, -0.5, v1
	v_sub_f32_e32 v1, v24, v6
	v_mov_b32_e32 v8, v9
	v_mul_f32_e32 v9, 0x3f5db3d7, v1
	v_mov_b32_e32 v14, v12
	v_mov_b32_e32 v15, v0
	v_add_f32_e32 v56, v11, v57
	v_pk_add_f32 v[10:11], v[12:13], v[8:9]
	v_pk_add_f32 v[8:9], v[14:15], v[8:9] neg_lo:[0,1] neg_hi:[0,1]
	v_mul_f32_e32 v11, 0xbf5db3d7, v54
	v_mul_f32_e32 v8, 0xbf5db3d7, v55
	v_fmac_f32_e32 v8, 0.5, v53
	v_add_f32_e32 v19, v58, v8
	v_fmac_f32_e32 v11, -0.5, v26
	v_sub_f32_e32 v77, v58, v8
	v_add_f32_e32 v8, v22, v20
	v_add_f32_e32 v78, v33, v11
	v_sub_f32_e32 v33, v33, v11
	v_sub_f32_e32 v11, v72, v60
	v_fma_f32 v57, -0.5, v8, v2
	v_fmamk_f32 v58, v11, 0x3f5db3d7, v57
	v_add_f32_e32 v18, v17, v59
	v_sub_f32_e32 v63, v17, v59
	v_mul_f32_e32 v17, 0.5, v3
	v_mul_f32_e32 v61, 0x3f5db3d7, v58
	v_fmamk_f32 v12, v1, 0x3f5db3d7, v0
	v_pk_add_f32 v[14:15], v[16:17], v[60:61]
	v_pk_add_f32 v[0:1], v[16:17], v[60:61] neg_lo:[0,1] neg_hi:[0,1]
	v_fmac_f32_e32 v57, 0xbf5db3d7, v11
	v_mov_b32_e32 v11, v9
	v_mov_b32_e32 v15, v1
	v_pk_add_f32 v[0:1], v[10:11], v[14:15]
	v_mul_f32_e32 v16, 0xbf5db3d7, v57
	v_mov_b32_e32 v11, 2
	v_fmac_f32_e32 v16, -0.5, v56
	v_mov_b32_e32 v13, v9
	v_mov_b32_e32 v17, v15
	v_mul_u32_u24_e32 v8, 0x48, v36
	v_lshlrev_b32_sdwa v9, v11, v71 dst_sel:DWORD dst_unused:UNUSED_PAD src0_sel:DWORD src1_sel:BYTE_0
	v_add3_u32 v59, 0, v8, v9
	v_pk_add_f32 v[8:9], v[12:13], v[16:17] neg_lo:[0,1] neg_hi:[0,1]
	v_mul_u32_u24_e32 v13, 0x48, v82
	v_lshlrev_b32_sdwa v11, v11, v83 dst_sel:DWORD dst_unused:UNUSED_PAD src0_sel:DWORD src1_sel:BYTE_0
	v_add3_u32 v61, 0, v13, v11
	ds_write2_b32 v59, v35, v62 offset1:3
	ds_write2_b32 v59, v73, v74 offset0:6 offset1:9
	ds_write2_b32 v59, v75, v76 offset0:12 offset1:15
	ds_write2_b32 v61, v18, v19 offset1:3
	ds_write2_b32 v61, v78, v63 offset0:6 offset1:9
	ds_write2_b32 v61, v77, v33 offset0:12 offset1:15
	s_and_saveexec_b64 s[4:5], s[2:3]
	s_xor_b64 s[4:5], exec, s[4:5]
	s_or_saveexec_b64 s[4:5], s[4:5]
	v_add_f32_e32 v35, v12, v16
	v_sub_f32_e32 v36, v10, v14
	v_mul_lo_u16_e32 v60, 18, v34
	v_lshlrev_b32_e32 v62, 2, v37
	s_xor_b64 exec, exec, s[4:5]
	s_cbranch_execz .LBB0_27
; %bb.26:
	v_lshlrev_b32_e32 v10, 2, v60
	v_add3_u32 v10, 0, v62, v10
	ds_write2_b32 v10, v0, v1 offset1:3
	ds_write2_b32 v10, v35, v36 offset0:6 offset1:9
	ds_write2_b32 v10, v9, v8 offset0:12 offset1:15
.LBB0_27:
	s_or_b64 exec, exec, s[4:5]
	v_add_u32_e32 v10, 0x400, v65
	s_waitcnt lgkmcnt(0)
	s_barrier
	ds_read2_b32 v[18:19], v10 offset0:32 offset1:140
	v_add_u32_e32 v10, 0x800, v65
	ds_read2_b32 v[16:17], v10 offset0:64 offset1:172
	v_add_u32_e32 v10, 0xc00, v65
	;; [unrolled: 2-line block ×4, first 2 shown]
	ds_read2_b32 v[10:11], v10 offset0:32 offset1:140
	ds_read_b32 v37, v65
	ds_read_b32 v33, v31
	v_lshl_add_u32 v34, v69, 2, 0
	s_and_saveexec_b64 s[4:5], s[0:1]
	s_cbranch_execz .LBB0_29
; %bb.28:
	ds_read_b32 v1, v65 offset:2016
	ds_read_b32 v35, v65 offset:3168
	;; [unrolled: 1-line block ×4, first 2 shown]
	ds_read_b32 v0, v34
	ds_read_b32 v8, v65 offset:6624
.LBB0_29:
	s_or_b64 exec, exec, s[4:5]
	v_add_f32_e32 v63, v32, v45
	v_add_f32_e32 v45, v45, v48
	v_fmac_f32_e32 v32, -0.5, v45
	v_sub_f32_e32 v44, v44, v47
	v_fmamk_f32 v45, v44, 0x3f5db3d7, v32
	v_fmac_f32_e32 v32, 0xbf5db3d7, v44
	v_mul_f32_e32 v44, 0.5, v52
	v_fmac_f32_e32 v44, 0x3f5db3d7, v50
	v_add_f32_e32 v47, v45, v44
	v_sub_f32_e32 v44, v45, v44
	v_add_f32_e32 v45, v30, v23
	v_add_f32_e32 v23, v23, v39
	;; [unrolled: 1-line block ×3, first 2 shown]
	v_mul_f32_e32 v48, -0.5, v51
	v_fmac_f32_e32 v30, -0.5, v23
	v_sub_f32_e32 v23, v46, v38
	v_add_f32_e32 v21, v27, v21
	v_mul_f32_e32 v27, -0.5, v54
	v_fmac_f32_e32 v48, 0x3f5db3d7, v42
	v_fmamk_f32 v38, v23, 0x3f5db3d7, v30
	v_fmac_f32_e32 v30, 0xbf5db3d7, v23
	v_mul_f32_e32 v23, 0.5, v55
	v_fmac_f32_e32 v27, 0x3f5db3d7, v26
	v_add_f32_e32 v40, v43, v40
	v_add_f32_e32 v42, v32, v48
	v_sub_f32_e32 v32, v32, v48
	v_add_f32_e32 v45, v45, v39
	v_add_f32_e32 v21, v21, v41
	v_fmac_f32_e32 v23, 0x3f5db3d7, v53
	v_add_f32_e32 v48, v30, v27
	v_sub_f32_e32 v30, v30, v27
	v_mov_b32_e32 v27, 0x3f5db3d7
	v_mov_b32_e32 v26, v4
	v_add_f32_e32 v40, v40, v49
	v_add_f32_e32 v41, v45, v21
	;; [unrolled: 1-line block ×3, first 2 shown]
	v_sub_f32_e32 v45, v45, v21
	v_sub_f32_e32 v49, v38, v23
	v_add_f32_e32 v21, v24, v6
	v_pk_add_f32 v[4:5], v[4:5], v[24:25]
	v_pk_mul_f32 v[38:39], v[26:27], v[24:25]
	s_mov_b32 s5, 0x3f5db3d7
	v_fmac_f32_e32 v7, -0.5, v21
	v_mov_b32_e32 v5, v39
	v_mov_b32_e32 v23, v27
	v_pk_add_f32 v[24:25], v[4:5], v[6:7]
	v_pk_add_f32 v[4:5], v[2:3], v[22:23]
	v_pk_mul_f32 v[2:3], v[2:3], s[4:5]
	v_mul_f32_e32 v21, 0.5, v58
	v_mov_b32_e32 v5, v3
	v_pk_add_f32 v[20:21], v[4:5], v[20:21]
	v_mul_f32_e32 v22, -0.5, v57
	v_sub_f32_e32 v6, v7, v39
	v_fmac_f32_e32 v22, 0x3f5db3d7, v56
	v_mov_b32_e32 v7, v25
	v_mov_b32_e32 v23, v21
	v_add_f32_e32 v43, v63, v40
	v_pk_add_f32 v[2:3], v[24:25], v[20:21]
	v_pk_add_f32 v[4:5], v[6:7], v[22:23] neg_lo:[0,1] neg_hi:[0,1]
	v_sub_f32_e32 v40, v63, v40
	s_waitcnt lgkmcnt(0)
	s_barrier
	ds_write2_b32 v59, v43, v47 offset1:3
	ds_write2_b32 v59, v42, v40 offset0:6 offset1:9
	ds_write2_b32 v59, v44, v32 offset0:12 offset1:15
	ds_write2_b32 v61, v41, v46 offset1:3
	ds_write2_b32 v61, v48, v45 offset0:6 offset1:9
	ds_write2_b32 v61, v49, v30 offset0:12 offset1:15
	s_and_saveexec_b64 s[4:5], s[2:3]
	s_xor_b64 s[2:3], exec, s[4:5]
; %bb.30:
                                        ; implicit-def: $vgpr60
                                        ; implicit-def: $vgpr62
; %bb.31:
	s_or_saveexec_b64 s[2:3], s[2:3]
	v_add_f32_e32 v38, v6, v22
	v_sub_f32_e32 v39, v24, v20
	s_xor_b64 exec, exec, s[2:3]
	s_cbranch_execz .LBB0_33
; %bb.32:
	v_lshlrev_b32_e32 v6, 2, v60
	v_add3_u32 v6, 0, v62, v6
	ds_write2_b32 v6, v2, v3 offset1:3
	ds_write2_b32 v6, v38, v39 offset0:6 offset1:9
	ds_write2_b32 v6, v5, v4 offset0:12 offset1:15
.LBB0_33:
	s_or_b64 exec, exec, s[2:3]
	v_add_u32_e32 v6, 0x400, v65
	s_waitcnt lgkmcnt(0)
	s_barrier
	ds_read2_b32 v[26:27], v6 offset0:32 offset1:140
	v_add_u32_e32 v6, 0x800, v65
	ds_read2_b32 v[24:25], v6 offset0:64 offset1:172
	v_add_u32_e32 v6, 0xc00, v65
	;; [unrolled: 2-line block ×4, first 2 shown]
	ds_read2_b32 v[6:7], v6 offset0:32 offset1:140
	ds_read_b32 v32, v65
	ds_read_b32 v30, v31
	s_and_saveexec_b64 s[2:3], s[0:1]
	s_cbranch_execz .LBB0_35
; %bb.34:
	ds_read_b32 v3, v65 offset:2016
	ds_read_b32 v38, v65 offset:3168
	;; [unrolled: 1-line block ×4, first 2 shown]
	ds_read_b32 v2, v34
	ds_read_b32 v4, v65 offset:6624
.LBB0_35:
	s_or_b64 exec, exec, s[2:3]
	v_mov_b32_e32 v40, 57
	v_mul_lo_u16_sdwa v41, v66, v40 dst_sel:DWORD dst_unused:UNUSED_PAD src0_sel:BYTE_0 src1_sel:DWORD
	v_mul_lo_u16_sdwa v40, v70, v40 dst_sel:DWORD dst_unused:UNUSED_PAD src0_sel:BYTE_0 src1_sel:DWORD
	v_lshrrev_b16_e32 v84, 10, v41
	v_lshrrev_b16_e32 v86, 10, v40
	v_mul_lo_u16_e32 v41, 18, v84
	v_mul_lo_u16_e32 v40, 18, v86
	v_sub_u16_e32 v85, v66, v41
	v_mov_b32_e32 v41, 5
	v_sub_u16_e32 v87, v70, v40
	s_mov_b32 s2, 0xe38f
	v_mul_u32_u24_sdwa v42, v85, v41 dst_sel:DWORD dst_unused:UNUSED_PAD src0_sel:BYTE_0 src1_sel:DWORD
	v_mul_u32_u24_sdwa v40, v87, v41 dst_sel:DWORD dst_unused:UNUSED_PAD src0_sel:BYTE_0 src1_sel:DWORD
	v_mul_u32_u24_sdwa v41, v69, s2 dst_sel:DWORD dst_unused:UNUSED_PAD src0_sel:WORD_0 src1_sel:DWORD
	v_lshlrev_b32_e32 v42, 3, v42
	v_lshlrev_b32_e32 v40, 3, v40
	v_lshrrev_b32_e32 v44, 20, v41
	global_load_dwordx4 v[48:51], v42, s[8:9] offset:120
	global_load_dwordx4 v[52:55], v40, s[8:9] offset:120
	;; [unrolled: 1-line block ×3, first 2 shown]
	global_load_dwordx2 v[78:79], v42, s[8:9] offset:152
	global_load_dwordx2 v[80:81], v40, s[8:9] offset:152
	global_load_dwordx4 v[60:63], v40, s[8:9] offset:136
	v_mul_lo_u16_e32 v40, 18, v44
	v_sub_u16_e32 v69, v69, v40
	v_mul_u32_u24_e32 v40, 5, v69
	v_lshlrev_b32_e32 v40, 3, v40
	global_load_dwordx4 v[70:73], v40, s[8:9] offset:120
	global_load_dwordx4 v[74:77], v40, s[8:9] offset:136
	global_load_dwordx2 v[82:83], v40, s[8:9] offset:152
	s_waitcnt lgkmcnt(0)
	s_barrier
	s_waitcnt vmcnt(5)
	v_mul_f32_e32 v89, v6, v79
	v_mul_f32_e32 v42, v26, v49
	;; [unrolled: 1-line block ×10, first 2 shown]
	v_fmac_f32_e32 v42, v18, v48
	v_fmac_f32_e32 v45, v16, v50
	s_waitcnt vmcnt(1)
	v_mul_f32_e32 v18, v5, v77
	v_fmac_f32_e32 v46, v14, v58
	v_mul_f32_e32 v57, v12, v57
	v_mul_f32_e32 v79, v10, v79
	;; [unrolled: 1-line block ×3, first 2 shown]
	v_fma_f32 v24, v24, v50, -v51
	v_fmac_f32_e32 v40, v19, v52
	v_fma_f32 v19, v27, v52, -v53
	v_mul_f32_e32 v52, v9, v77
	s_waitcnt vmcnt(0)
	v_mul_f32_e32 v27, v4, v83
	v_fmac_f32_e32 v88, v12, v56
	v_fma_f32 v22, v22, v58, -v59
	v_fmac_f32_e32 v89, v10, v78
	v_fmac_f32_e32 v18, v9, v76
	v_add_f32_e32 v9, v45, v46
	v_mul_f32_e32 v81, v11, v81
	v_mul_f32_e32 v53, v8, v83
	v_fma_f32 v20, v20, v56, -v57
	v_fma_f32 v14, v6, v78, -v79
	v_fmac_f32_e32 v91, v11, v80
	v_fmac_f32_e32 v27, v8, v82
	v_add_f32_e32 v8, v37, v45
	v_fmac_f32_e32 v37, -0.5, v9
	v_sub_f32_e32 v9, v24, v22
	v_add_f32_e32 v11, v88, v89
	v_mul_f32_e32 v90, v21, v61
	v_mul_f32_e32 v61, v13, v61
	v_fmamk_f32 v10, v9, 0xbf5db3d7, v37
	v_fmac_f32_e32 v37, 0x3f5db3d7, v9
	v_add_f32_e32 v9, v42, v88
	v_fmac_f32_e32 v42, -0.5, v11
	v_sub_f32_e32 v11, v20, v14
	v_mul_f32_e32 v43, v23, v63
	v_mul_f32_e32 v63, v15, v63
	v_fma_f32 v26, v26, v48, -v49
	v_fma_f32 v12, v21, v60, -v61
	v_fmamk_f32 v21, v11, 0xbf5db3d7, v42
	v_fmac_f32_e32 v42, 0x3f5db3d7, v11
	v_add_f32_e32 v11, v20, v14
	v_mul_f32_e32 v48, v39, v75
	v_fmac_f32_e32 v90, v13, v60
	v_fma_f32 v13, v23, v62, -v63
	v_fma_f32 v23, -0.5, v11, v26
	v_sub_f32_e32 v11, v88, v89
	v_mul_f32_e32 v41, v25, v55
	v_mul_f32_e32 v51, v36, v75
	v_fmac_f32_e32 v48, v36, v74
	v_fmamk_f32 v36, v11, 0x3f5db3d7, v23
	v_mul_f32_e32 v55, v17, v55
	v_mul_f32_e32 v50, v35, v73
	v_fmac_f32_e32 v41, v17, v54
	v_fmac_f32_e32 v43, v15, v62
	v_add_f32_e32 v8, v8, v46
	v_add_f32_e32 v9, v9, v89
	v_fmac_f32_e32 v23, 0xbf5db3d7, v11
	v_mul_f32_e32 v11, 0xbf5db3d7, v36
	v_mul_f32_e32 v47, v3, v71
	;; [unrolled: 1-line block ×4, first 2 shown]
	v_fma_f32 v17, v25, v54, -v55
	v_fma_f32 v6, v38, v72, -v50
	v_add_f32_e32 v15, v8, v9
	v_fmac_f32_e32 v11, 0.5, v21
	v_sub_f32_e32 v50, v8, v9
	v_add_f32_e32 v9, v41, v43
	v_fma_f32 v7, v7, v80, -v81
	v_fmac_f32_e32 v47, v1, v70
	v_fma_f32 v1, v3, v70, -v49
	v_fmac_f32_e32 v16, v35, v72
	v_fma_f32 v3, v39, v74, -v51
	v_add_f32_e32 v35, v10, v11
	v_mul_f32_e32 v25, 0xbf5db3d7, v23
	v_sub_f32_e32 v51, v10, v11
	v_add_f32_e32 v8, v33, v41
	v_fmac_f32_e32 v33, -0.5, v9
	v_sub_f32_e32 v9, v17, v13
	v_add_f32_e32 v11, v90, v91
	v_fmac_f32_e32 v25, -0.5, v42
	v_fmamk_f32 v10, v9, 0xbf5db3d7, v33
	v_fmac_f32_e32 v33, 0x3f5db3d7, v9
	v_add_f32_e32 v9, v40, v90
	v_fmac_f32_e32 v40, -0.5, v11
	v_sub_f32_e32 v11, v12, v7
	v_fma_f32 v5, v5, v76, -v52
	v_add_f32_e32 v49, v37, v25
	v_sub_f32_e32 v52, v37, v25
	v_fmamk_f32 v37, v11, 0xbf5db3d7, v40
	v_fmac_f32_e32 v40, 0x3f5db3d7, v11
	v_add_f32_e32 v11, v12, v7
	v_fma_f32 v38, -0.5, v11, v19
	v_sub_f32_e32 v11, v90, v91
	v_fmamk_f32 v39, v11, 0x3f5db3d7, v38
	v_add_f32_e32 v8, v8, v43
	v_add_f32_e32 v9, v9, v91
	v_fmac_f32_e32 v38, 0xbf5db3d7, v11
	v_mul_f32_e32 v11, 0xbf5db3d7, v39
	v_fma_f32 v4, v4, v82, -v53
	v_add_f32_e32 v53, v8, v9
	v_fmac_f32_e32 v11, 0.5, v37
	v_sub_f32_e32 v56, v8, v9
	v_add_f32_e32 v8, v48, v27
	v_add_f32_e32 v54, v10, v11
	v_mul_f32_e32 v25, 0xbf5db3d7, v38
	v_sub_f32_e32 v57, v10, v11
	v_fma_f32 v8, -0.5, v8, v47
	v_sub_f32_e32 v10, v3, v4
	v_fmac_f32_e32 v25, -0.5, v40
	v_fmamk_f32 v9, v10, 0xbf5db3d7, v8
	v_fmac_f32_e32 v8, 0x3f5db3d7, v10
	v_add_f32_e32 v10, v3, v4
	v_add_f32_e32 v55, v33, v25
	v_sub_f32_e32 v33, v33, v25
	v_fma_f32 v10, -0.5, v10, v1
	v_sub_f32_e32 v25, v48, v27
	v_mov_b32_e32 v58, 2
	v_fmamk_f32 v11, v25, 0x3f5db3d7, v10
	v_fmac_f32_e32 v10, 0xbf5db3d7, v25
	v_mul_u32_u24_e32 v25, 0x1b0, v84
	v_lshlrev_b32_sdwa v59, v58, v85 dst_sel:DWORD dst_unused:UNUSED_PAD src0_sel:DWORD src1_sel:BYTE_0
	v_add3_u32 v25, 0, v25, v59
	ds_write2_b32 v25, v15, v35 offset1:18
	ds_write2_b32 v25, v49, v50 offset0:36 offset1:54
	ds_write2_b32 v25, v51, v52 offset0:72 offset1:90
	v_mul_u32_u24_e32 v15, 0x1b0, v86
	v_lshlrev_b32_sdwa v35, v58, v87 dst_sel:DWORD dst_unused:UNUSED_PAD src0_sel:DWORD src1_sel:BYTE_0
	v_add3_u32 v35, 0, v15, v35
	v_lshlrev_b32_e32 v15, 2, v69
	ds_write2_b32 v35, v53, v54 offset1:18
	ds_write2_b32 v35, v55, v56 offset0:36 offset1:54
	ds_write2_b32 v35, v57, v33 offset0:72 offset1:90
	s_and_saveexec_b64 s[2:3], s[0:1]
	s_cbranch_execz .LBB0_37
; %bb.36:
	v_add_f32_e32 v33, v16, v18
	v_fma_f32 v33, -0.5, v33, v0
	v_add_f32_e32 v0, v0, v16
	v_add_f32_e32 v47, v47, v48
	v_sub_f32_e32 v49, v6, v5
	v_add_f32_e32 v0, v0, v18
	v_add_f32_e32 v27, v47, v27
	v_fmamk_f32 v50, v49, 0x3f5db3d7, v33
	v_fmac_f32_e32 v33, 0xbf5db3d7, v49
	v_mul_f32_e32 v49, 0xbf5db3d7, v11
	v_sub_f32_e32 v47, v0, v27
	v_add_f32_e32 v0, v0, v27
	v_mul_lo_u16_e32 v27, 0x6c, v44
	v_mul_f32_e32 v51, 0xbf5db3d7, v10
	v_fmac_f32_e32 v49, 0.5, v9
	v_lshlrev_b32_e32 v27, 2, v27
	v_fmac_f32_e32 v51, -0.5, v8
	v_sub_f32_e32 v53, v33, v49
	v_add_f32_e32 v33, v33, v49
	v_add3_u32 v27, 0, v15, v27
	v_sub_f32_e32 v52, v50, v51
	v_add_f32_e32 v48, v50, v51
	ds_write2_b32 v27, v0, v33 offset1:18
	ds_write2_b32 v27, v48, v47 offset0:36 offset1:54
	ds_write2_b32 v27, v53, v52 offset0:72 offset1:90
.LBB0_37:
	s_or_b64 exec, exec, s[2:3]
	v_add_f32_e32 v0, v32, v24
	v_add_f32_e32 v0, v0, v22
	;; [unrolled: 1-line block ×3, first 2 shown]
	v_fmac_f32_e32 v32, -0.5, v22
	v_sub_f32_e32 v22, v45, v46
	v_fmamk_f32 v24, v22, 0x3f5db3d7, v32
	v_fmac_f32_e32 v32, 0xbf5db3d7, v22
	v_add_f32_e32 v20, v26, v20
	v_mul_f32_e32 v22, 0.5, v36
	v_mul_f32_e32 v23, -0.5, v23
	v_add_f32_e32 v14, v20, v14
	v_fmac_f32_e32 v22, 0x3f5db3d7, v21
	v_fmac_f32_e32 v23, 0x3f5db3d7, v42
	v_add_f32_e32 v20, v0, v14
	v_add_f32_e32 v21, v24, v22
	;; [unrolled: 1-line block ×3, first 2 shown]
	v_sub_f32_e32 v0, v0, v14
	v_sub_f32_e32 v14, v24, v22
	;; [unrolled: 1-line block ×3, first 2 shown]
	v_add_f32_e32 v23, v30, v17
	v_add_f32_e32 v23, v23, v13
	;; [unrolled: 1-line block ×3, first 2 shown]
	v_fmac_f32_e32 v30, -0.5, v13
	v_sub_f32_e32 v13, v41, v43
	v_add_f32_e32 v12, v19, v12
	v_fmamk_f32 v17, v13, 0x3f5db3d7, v30
	v_fmac_f32_e32 v30, 0xbf5db3d7, v13
	v_add_f32_e32 v7, v12, v7
	v_mul_f32_e32 v13, 0.5, v39
	v_mul_f32_e32 v24, -0.5, v38
	v_add_f32_e32 v12, v23, v7
	v_fmac_f32_e32 v13, 0x3f5db3d7, v37
	v_fmac_f32_e32 v24, 0x3f5db3d7, v40
	v_sub_f32_e32 v7, v23, v7
	v_add_u32_e32 v23, 0x800, v65
	v_add_f32_e32 v19, v17, v13
	v_add_f32_e32 v27, v30, v24
	v_sub_f32_e32 v13, v17, v13
	v_sub_f32_e32 v17, v30, v24
	s_waitcnt lgkmcnt(0)
	s_barrier
	ds_read_b32 v59, v34
	v_lshl_add_u32 v56, v67, 2, 0
	v_lshl_add_u32 v57, v68, 2, 0
	ds_read_b32 v30, v65
	ds_read_b32 v39, v56
	;; [unrolled: 1-line block ×3, first 2 shown]
	v_lshl_add_u32 v58, v66, 2, 0
	ds_read_b32 v38, v31
	ds_read_b32 v45, v58 offset:2160
	ds_read2_b32 v[50:51], v23 offset0:136 offset1:244
	v_add_u32_e32 v23, 0xc00, v65
	ds_read2_b32 v[36:37], v23 offset0:96 offset1:204
	v_add_u32_e32 v23, 0x1000, v65
	;; [unrolled: 2-line block ×4, first 2 shown]
	ds_read2_b32 v[42:43], v23 offset0:104 offset1:212
	s_waitcnt lgkmcnt(0)
	s_barrier
	ds_write2_b32 v25, v20, v21 offset1:18
	ds_write2_b32 v25, v26, v0 offset0:36 offset1:54
	ds_write2_b32 v25, v14, v22 offset0:72 offset1:90
	ds_write2_b32 v35, v12, v19 offset1:18
	ds_write2_b32 v35, v27, v7 offset0:36 offset1:54
	ds_write2_b32 v35, v13, v17 offset0:72 offset1:90
	s_and_saveexec_b64 s[2:3], s[0:1]
	s_cbranch_execz .LBB0_39
; %bb.38:
	v_add_f32_e32 v0, v2, v6
	v_add_f32_e32 v0, v0, v5
	;; [unrolled: 1-line block ×4, first 2 shown]
	v_fmac_f32_e32 v2, -0.5, v5
	v_sub_f32_e32 v5, v16, v18
	v_add_f32_e32 v1, v1, v4
	v_mul_f32_e32 v4, 0.5, v11
	v_fmamk_f32 v6, v5, 0x3f5db3d7, v2
	v_fmac_f32_e32 v4, 0x3f5db3d7, v9
	v_fmamk_f32 v2, v5, 0xbf5db3d7, v2
	v_add_f32_e32 v3, v0, v1
	v_add_f32_e32 v5, v6, v4
	v_sub_f32_e32 v0, v0, v1
	v_sub_f32_e32 v1, v6, v4
	v_mul_lo_u16_e32 v4, 0x6c, v44
	v_mul_f32_e32 v7, -0.5, v10
	v_lshlrev_b32_e32 v4, 2, v4
	v_fmac_f32_e32 v7, 0x3f5db3d7, v8
	v_add3_u32 v4, 0, v15, v4
	v_add_f32_e32 v8, v2, v7
	v_sub_f32_e32 v2, v2, v7
	ds_write2_b32 v4, v3, v5 offset1:18
	ds_write2_b32 v4, v8, v0 offset0:36 offset1:54
	ds_write2_b32 v4, v1, v2 offset0:72 offset1:90
.LBB0_39:
	s_or_b64 exec, exec, s[2:3]
	s_waitcnt lgkmcnt(0)
	s_barrier
	s_and_saveexec_b64 s[0:1], vcc
	s_cbranch_execz .LBB0_41
; %bb.40:
	v_mul_u32_u24_e32 v0, 15, v66
	v_lshlrev_b32_e32 v35, 3, v0
	global_load_dwordx4 v[4:7], v35, s[8:9] offset:840
	global_load_dwordx4 v[24:27], v35, s[8:9] offset:904
	;; [unrolled: 1-line block ×7, first 2 shown]
	global_load_dwordx2 v[48:49], v35, s[8:9] offset:952
	v_add_u32_e32 v72, 0x1600, v65
	v_add_u32_e32 v66, 0xc00, v65
	v_add_u32_e32 v74, 0x1400, v65
	ds_read_b32 v63, v34
	v_add_u32_e32 v52, 0x1000, v65
	v_add_u32_e32 v53, 0x800, v65
	ds_read_b32 v62, v31
	ds_read2_b32 v[66:67], v66 offset0:96 offset1:204
	ds_read2_b32 v[68:69], v52 offset0:56 offset1:164
	ds_read2_b32 v[70:71], v53 offset0:136 offset1:244
	ds_read2_b32 v[72:73], v72 offset0:104 offset1:212
	ds_read2_b32 v[74:75], v74 offset0:16 offset1:124
	v_mad_u64_u32 v[34:35], s[0:1], s6, v64, 0
	s_waitcnt lgkmcnt(2)
	v_mov_b32_e32 v78, v71
	ds_read_b32 v79, v58 offset:2160
	ds_read_b32 v71, v57
	v_mov_b32_e32 v55, v32
	v_mov_b32_e32 v46, v50
	;; [unrolled: 1-line block ×3, first 2 shown]
	v_add_u32_e32 v88, 0x6c, v64
	v_mov_b32_e32 v54, v36
	v_add_u32_e32 v36, 0xd8, v64
	v_mov_b32_e32 v60, v42
	v_mov_b32_e32 v61, v40
	;; [unrolled: 1-line block ×5, first 2 shown]
	v_mad_u64_u32 v[52:53], s[0:1], s6, v88, 0
	v_mad_u64_u32 v[50:51], s[0:1], s6, v36, 0
	s_waitcnt lgkmcnt(3)
	v_mov_b32_e32 v80, v72
	s_waitcnt lgkmcnt(2)
	v_mov_b32_e32 v81, v74
	v_add_u32_e32 v89, 0x144, v64
	v_add_u32_e32 v90, 0x1b0, v64
	v_mov_b32_e32 v40, v43
	v_mov_b32_e32 v74, v73
	;; [unrolled: 1-line block ×3, first 2 shown]
	s_mov_b32 s2, 0x3f6c835e
	s_mov_b32 s4, 0x3ec3ef15
	s_waitcnt vmcnt(7)
	v_mul_f32_e32 v35, v59, v7
	v_mul_f32_e32 v31, v63, v7
	v_mov_b32_e32 v84, v4
	s_waitcnt vmcnt(6)
	v_mov_b32_e32 v83, v26
	s_waitcnt vmcnt(5)
	;; [unrolled: 2-line block ×3, first 2 shown]
	v_mov_b32_e32 v4, v23
	v_mov_b32_e32 v23, v10
	v_mov_b32_e32 v85, v8
	v_mov_b32_e32 v8, v5
	v_mov_b32_e32 v86, v24
	v_mov_b32_e32 v87, v0
	v_mov_b32_e32 v0, v25
	v_mov_b32_e32 v5, v11
	v_mov_b32_e32 v11, v21
	v_fmac_f32_e32 v31, v59, v6
	v_fma_f32 v21, v63, v6, -v35
	s_waitcnt vmcnt(1)
	v_mov_b32_e32 v6, v15
	v_mov_b32_e32 v15, v2
	v_pk_mul_f32 v[24:25], v[46:47], v[22:23]
	v_mov_b32_e32 v82, v18
	v_mov_b32_e32 v10, v17
	v_mov_b32_e32 v17, v20
	v_mov_b32_e32 v7, v3
	v_pk_mul_f32 v[2:3], v[54:55], v[26:27]
	v_pk_mul_f32 v[18:19], v[76:77], v[26:27]
	;; [unrolled: 1-line block ×4, first 2 shown]
	s_waitcnt lgkmcnt(0)
	v_pk_fma_f32 v[24:25], v[70:71], v[4:5], v[24:25]
	v_mad_u64_u32 v[4:5], s[0:1], s7, v64, v[32:33]
	v_pk_fma_f32 v[46:47], v[76:77], v[82:83], v[2:3] neg_lo:[0,0,1] neg_hi:[0,0,1]
	v_pk_mul_f32 v[2:3], v[44:45], v[16:17]
	v_pk_mul_f32 v[44:45], v[44:45], v[10:11]
	v_pk_mul_f32 v[60:61], v[60:61], v[6:7]
	ds_read_b32 v63, v56
	v_pk_fma_f32 v[56:57], v[80:81], v[6:7], v[58:59]
	v_mov_b32_e32 v6, v53
	v_mov_b32_e32 v35, v4
	;; [unrolled: 1-line block ×3, first 2 shown]
	v_pk_fma_f32 v[22:23], v[70:71], v[22:23], v[26:27] neg_lo:[0,0,1] neg_hi:[0,0,1]
	v_pk_fma_f32 v[26:27], v[78:79], v[16:17], v[44:45] neg_lo:[0,0,1] neg_hi:[0,0,1]
	v_pk_fma_f32 v[44:45], v[78:79], v[10:11], v[2:3]
	v_pk_fma_f32 v[58:59], v[80:81], v[14:15], v[60:61] neg_lo:[0,0,1] neg_hi:[0,0,1]
	s_waitcnt vmcnt(0)
	v_mov_b32_e32 v14, v49
	v_mov_b32_e32 v15, v13
	;; [unrolled: 1-line block ×3, first 2 shown]
	v_mad_u64_u32 v[2:3], s[0:1], s6, v89, 0
	v_mad_u64_u32 v[6:7], s[0:1], s7, v88, v[6:7]
	;; [unrolled: 1-line block ×4, first 2 shown]
	v_mov_b32_e32 v10, v3
	v_mov_b32_e32 v53, v6
	;; [unrolled: 1-line block ×3, first 2 shown]
	v_add_u32_e32 v5, 0x21c, v64
	v_mad_u64_u32 v[10:11], s[0:1], s7, v89, v[10:11]
	v_mad_u64_u32 v[16:17], s[0:1], s7, v90, v[6:7]
	;; [unrolled: 1-line block ×3, first 2 shown]
	v_mov_b32_e32 v3, v10
	v_mov_b32_e32 v10, v7
	;; [unrolled: 1-line block ×3, first 2 shown]
	v_mad_u64_u32 v[12:13], s[0:1], s7, v5, v[10:11]
	v_add_u32_e32 v13, 0x288, v64
	v_mad_u64_u32 v[10:11], s[0:1], s6, v13, 0
	v_mov_b32_e32 v7, v12
	v_mov_b32_e32 v12, v11
	v_mad_u64_u32 v[12:13], s[0:1], s7, v13, v[12:13]
	v_add_u32_e32 v17, 0x2f4, v64
	v_mov_b32_e32 v11, v12
	v_mad_u64_u32 v[12:13], s[0:1], s6, v17, 0
	v_mov_b32_e32 v5, v16
	v_mov_b32_e32 v16, v13
	v_mad_u64_u32 v[16:17], s[0:1], s7, v17, v[16:17]
	v_mov_b32_e32 v13, v16
	v_pk_mul_f32 v[16:17], v[40:41], v[48:49]
	v_pk_fma_f32 v[54:55], v[54:55], v[82:83], v[18:19]
	v_pk_fma_f32 v[42:43], v[74:75], v[14:15], v[16:17]
	v_pk_mul_f32 v[14:15], v[40:41], v[14:15]
	v_add_u32_e32 v17, 0x360, v64
	v_pk_fma_f32 v[40:41], v[74:75], v[48:49], v[14:15] neg_lo:[0,0,1] neg_hi:[0,0,1]
	v_mad_u64_u32 v[14:15], s[0:1], s6, v17, 0
	v_mov_b32_e32 v16, v15
	v_mad_u64_u32 v[16:17], s[0:1], s7, v17, v[16:17]
	v_add_u32_e32 v19, 0x3cc, v64
	v_mov_b32_e32 v15, v16
	v_mad_u64_u32 v[16:17], s[0:1], s6, v19, 0
	v_mov_b32_e32 v18, v17
	v_mad_u64_u32 v[18:19], s[0:1], s7, v19, v[18:19]
	v_add_u32_e32 v32, 0x438, v64
	v_mov_b32_e32 v17, v18
	v_mad_u64_u32 v[18:19], s[0:1], s6, v32, 0
	v_mov_b32_e32 v20, v19
	v_mad_u64_u32 v[48:49], s[0:1], s7, v32, v[20:21]
	v_mov_b32_e32 v19, v48
	v_pk_mul_f32 v[48:49], v[38:39], v[8:9]
	s_waitcnt lgkmcnt(0)
	v_pk_mul_f32 v[8:9], v[62:63], v[8:9]
	v_add_u32_e32 v36, 0x4a4, v64
	v_pk_fma_f32 v[8:9], v[38:39], v[84:85], v[8:9]
	v_mad_u64_u32 v[38:39], s[0:1], s6, v36, 0
	v_mov_b32_e32 v32, v39
	v_mad_u64_u32 v[60:61], s[0:1], s7, v36, v[32:33]
	v_add_u32_e32 v36, 0x510, v64
	v_mov_b32_e32 v39, v60
	v_mad_u64_u32 v[60:61], s[0:1], s6, v36, 0
	v_mov_b32_e32 v32, v61
	v_pk_fma_f32 v[48:49], v[62:63], v[84:85], v[48:49] neg_lo:[0,0,1] neg_hi:[0,0,1]
	v_mad_u64_u32 v[62:63], s[0:1], s7, v36, v[32:33]
	v_add_u32_e32 v36, 0x57c, v64
	v_mov_b32_e32 v61, v62
	v_mad_u64_u32 v[62:63], s[0:1], s6, v36, 0
	v_mov_b32_e32 v32, v63
	v_mad_u64_u32 v[70:71], s[0:1], s7, v36, v[32:33]
	v_add_u32_e32 v36, 0x5e8, v64
	ds_read_b32 v20, v65
	v_mov_b32_e32 v63, v70
	v_mad_u64_u32 v[70:71], s[0:1], s6, v36, 0
	v_mov_b32_e32 v32, v71
	v_mad_u64_u32 v[72:73], s[0:1], s7, v36, v[32:33]
	v_mov_b32_e32 v32, v37
	v_pk_mul_f32 v[36:37], v[32:33], v[0:1]
	v_pk_mul_f32 v[0:1], v[68:69], v[0:1]
	v_pk_fma_f32 v[36:37], v[68:69], v[86:87], v[36:37] neg_lo:[0,0,1] neg_hi:[0,0,1]
	v_pk_fma_f32 v[0:1], v[32:33], v[86:87], v[0:1]
	s_waitcnt lgkmcnt(0)
	v_pk_add_f32 v[46:47], v[20:21], v[46:47] neg_lo:[0,1] neg_hi:[0,1]
	v_pk_add_f32 v[56:57], v[24:25], v[56:57] neg_lo:[0,1] neg_hi:[0,1]
	;; [unrolled: 1-line block ×8, first 2 shown]
	v_pk_fma_f32 v[20:21], v[20:21], 2.0, v[46:47] op_sel_hi:[1,0,1] neg_lo:[0,0,1] neg_hi:[0,0,1]
	v_pk_fma_f32 v[22:23], v[22:23], 2.0, v[58:59] op_sel_hi:[1,0,1] neg_lo:[0,0,1] neg_hi:[0,0,1]
	;; [unrolled: 1-line block ×8, first 2 shown]
	v_pk_add_f32 v[22:23], v[20:21], v[22:23] op_sel:[0,1] op_sel_hi:[1,0] neg_lo:[0,1] neg_hi:[0,1]
	v_pk_add_f32 v[24:25], v[30:31], v[24:25] op_sel:[1,0] op_sel_hi:[0,1] neg_lo:[0,1] neg_hi:[0,1]
	;; [unrolled: 1-line block ×4, first 2 shown]
	v_mov_b32_e32 v71, v72
	v_pk_add_f32 v[32:33], v[22:23], v[24:25]
	v_pk_add_f32 v[66:67], v[22:23], v[24:25] neg_lo:[0,1] neg_hi:[0,1]
	v_pk_add_f32 v[68:69], v[26:27], v[44:45]
	v_pk_add_f32 v[72:73], v[26:27], v[44:45] neg_lo:[0,1] neg_hi:[0,1]
	v_mov_b32_e32 v67, v33
	v_mov_b32_e32 v73, v69
	s_mov_b32 s0, 0x3f3504f3
	v_mov_b32_e32 v65, v46
	v_pk_mul_f32 v[74:75], v[72:73], s[0:1] op_sel_hi:[1,0]
	v_pk_fma_f32 v[76:77], v[72:73], s[0:1], v[66:67] op_sel_hi:[1,0,1]
	v_mov_b32_e32 v68, v69
	v_mov_b32_e32 v69, v72
	v_pk_add_f32 v[72:73], v[64:65], v[56:57] neg_lo:[0,1] neg_hi:[0,1]
	v_mov_b32_e32 v57, v56
	v_mov_b32_e32 v32, v55
	v_pk_add_f32 v[78:79], v[76:77], v[74:75] op_sel:[0,1] op_sel_hi:[1,0]
	v_pk_add_f32 v[74:75], v[76:77], v[74:75] op_sel:[0,1] op_sel_hi:[1,0] neg_lo:[0,1] neg_hi:[0,1]
	v_pk_add_f32 v[56:57], v[46:47], v[56:57] neg_lo:[0,1] neg_hi:[0,1]
	v_pk_add_f32 v[76:77], v[32:33], v[58:59]
	v_mov_b32_e32 v32, v59
	v_mov_b32_e32 v77, v57
	v_pk_add_f32 v[56:57], v[54:55], v[32:33]
	v_mov_b32_e32 v58, v55
	v_mov_b32_e32 v59, v47
	;; [unrolled: 1-line block ×4, first 2 shown]
	v_pk_fma_f32 v[46:47], v[58:59], 2.0, v[76:77] op_sel_hi:[1,0,1] neg_lo:[0,0,1] neg_hi:[0,0,1]
	v_pk_fma_f32 v[54:55], v[54:55], 2.0, v[56:57] op_sel_hi:[1,0,1] neg_lo:[0,0,1] neg_hi:[0,0,1]
	v_pk_mul_f32 v[58:59], v[46:47], s[0:1] op_sel_hi:[1,0]
	v_pk_fma_f32 v[46:47], v[46:47], s[0:1], v[54:55] op_sel_hi:[1,0,1] neg_lo:[1,0,0] neg_hi:[1,0,0]
	v_mov_b32_e32 v32, v1
	v_pk_add_f32 v[72:73], v[46:47], v[58:59] op_sel:[0,1] op_sel_hi:[1,0]
	v_pk_add_f32 v[46:47], v[46:47], v[58:59] op_sel:[0,1] op_sel_hi:[1,0] neg_lo:[0,1] neg_hi:[0,1]
	v_mov_b32_e32 v59, v36
	v_pk_add_f32 v[58:59], v[58:59], v[42:43] neg_lo:[0,1] neg_hi:[0,1]
	v_mov_b32_e32 v43, v42
	v_pk_add_f32 v[80:81], v[32:33], v[40:41]
	v_mov_b32_e32 v32, v41
	v_pk_add_f32 v[42:43], v[36:37], v[42:43] neg_lo:[0,1] neg_hi:[0,1]
	v_pk_add_f32 v[40:41], v[0:1], v[32:33]
	v_mov_b32_e32 v81, v43
	v_mov_b32_e32 v42, v1
	;; [unrolled: 1-line block ×5, first 2 shown]
	v_pk_fma_f32 v[36:37], v[42:43], 2.0, v[80:81] op_sel_hi:[1,0,1] neg_lo:[0,0,1] neg_hi:[0,0,1]
	v_pk_fma_f32 v[0:1], v[0:1], 2.0, v[40:41] op_sel_hi:[1,0,1] neg_lo:[0,0,1] neg_hi:[0,0,1]
	v_pk_mul_f32 v[42:43], v[36:37], s[0:1] op_sel_hi:[1,0]
	v_pk_fma_f32 v[36:37], v[36:37], s[0:1], v[0:1] op_sel_hi:[1,0,1] neg_lo:[1,0,0] neg_hi:[1,0,0]
	v_mov_b32_e32 v73, v47
	v_pk_add_f32 v[58:59], v[36:37], v[42:43] op_sel:[0,1] op_sel_hi:[1,0]
	v_pk_add_f32 v[36:37], v[36:37], v[42:43] op_sel:[0,1] op_sel_hi:[1,0] neg_lo:[0,1] neg_hi:[0,1]
	v_fma_f32 v65, v0, 2.0, -v58
	v_mov_b32_e32 v59, v37
	v_fma_f32 v46, v1, 2.0, -v37
	v_pk_mul_f32 v[0:1], v[58:59], s[2:3] op_sel_hi:[1,0]
	v_pk_fma_f32 v[36:37], v[58:59], s[4:5], v[72:73] op_sel_hi:[1,0,1]
	v_mov_b32_e32 v32, v33
	v_pk_add_f32 v[42:43], v[36:37], v[0:1] op_sel:[0,1] op_sel_hi:[1,0]
	v_pk_add_f32 v[0:1], v[36:37], v[0:1] op_sel:[0,1] op_sel_hi:[1,0] neg_lo:[0,1] neg_hi:[0,1]
	v_mov_b32_e32 v33, v66
	v_mov_b32_e32 v43, v1
	;; [unrolled: 1-line block ×8, first 2 shown]
	v_pk_fma_f32 v[20:21], v[20:21], 2.0, v[24:25] op_sel_hi:[1,0,1] neg_lo:[0,0,1] neg_hi:[0,0,1]
	v_mov_b32_e32 v22, v48
	v_mov_b32_e32 v23, v8
	;; [unrolled: 1-line block ×4, first 2 shown]
	v_pk_fma_f32 v[22:23], v[22:23], 2.0, v[24:25] op_sel_hi:[1,0,1] neg_lo:[0,0,1] neg_hi:[0,0,1]
	v_mov_b32_e32 v8, v49
	v_mov_b32_e32 v24, v27
	;; [unrolled: 1-line block ×3, first 2 shown]
	v_pk_fma_f32 v[8:9], v[8:9], 2.0, v[24:25] op_sel_hi:[1,0,1] neg_lo:[0,0,1] neg_hi:[0,0,1]
	v_pk_fma_f32 v[0:1], v[0:1], 2.0, v[30:31] op_sel_hi:[1,0,1] neg_lo:[0,0,1] neg_hi:[0,0,1]
	v_pk_add_f32 v[8:9], v[22:23], v[8:9] neg_lo:[0,1] neg_hi:[0,1]
	v_pk_add_f32 v[20:21], v[0:1], v[20:21] neg_lo:[0,1] neg_hi:[0,1]
	v_pk_fma_f32 v[48:49], v[76:77], s[0:1], v[56:57] op_sel_hi:[1,0,1]
	v_pk_add_f32 v[24:25], v[20:21], v[8:9]
	v_pk_add_f32 v[36:37], v[20:21], v[8:9] neg_lo:[0,1] neg_hi:[0,1]
	v_pk_fma_f32 v[30:31], v[30:31], 2.0, v[32:33] op_sel_hi:[1,0,1] neg_lo:[0,0,1] neg_hi:[0,0,1]
	v_mov_b32_e32 v25, v37
	v_pk_mul_f32 v[36:37], v[76:77], s[0:1] op_sel_hi:[1,0]
	v_pk_fma_f32 v[76:77], v[80:81], s[0:1], v[40:41] op_sel_hi:[1,0,1]
	v_pk_add_f32 v[58:59], v[48:49], v[36:37] op_sel:[0,1] op_sel_hi:[1,0]
	v_pk_add_f32 v[36:37], v[48:49], v[36:37] op_sel:[0,1] op_sel_hi:[1,0] neg_lo:[0,1] neg_hi:[0,1]
	v_pk_mul_f32 v[48:49], v[80:81], s[0:1] op_sel_hi:[1,0]
	v_mov_b32_e32 v59, v37
	v_pk_add_f32 v[80:81], v[76:77], v[48:49] op_sel:[0,1] op_sel_hi:[1,0]
	v_pk_add_f32 v[48:49], v[76:77], v[48:49] op_sel:[0,1] op_sel_hi:[1,0] neg_lo:[0,1] neg_hi:[0,1]
	v_fmamk_f32 v76, v80, 0x3f6c835e, v58
	v_mov_b32_e32 v81, v49
	v_fmamk_f32 v77, v49, 0x3f6c835e, v37
	v_fmac_f32_e32 v76, 0x3ec3ef15, v49
	v_pk_fma_f32 v[48:49], v[56:57], 2.0, v[58:59] op_sel_hi:[1,0,1] neg_lo:[0,0,1] neg_hi:[0,0,1]
	v_pk_fma_f32 v[40:41], v[40:41], 2.0, v[80:81] op_sel_hi:[1,0,1] neg_lo:[0,0,1] neg_hi:[0,0,1]
	v_mov_b32_e32 v32, v45
	v_mov_b32_e32 v33, v26
	v_pk_mul_f32 v[56:57], v[40:41], s[2:3] op_sel_hi:[1,0]
	v_pk_fma_f32 v[40:41], v[40:41], s[4:5], v[48:49] op_sel_hi:[1,0,1] neg_lo:[1,0,0] neg_hi:[1,0,0]
	v_pk_fma_f32 v[26:27], v[32:33], 2.0, v[68:69] op_sel_hi:[1,0,1] neg_lo:[0,0,1] neg_hi:[0,0,1]
	v_fma_f32 v36, v58, 2.0, -v76
	v_pk_add_f32 v[58:59], v[40:41], v[56:57] op_sel:[0,1] op_sel_hi:[1,0]
	v_pk_add_f32 v[40:41], v[40:41], v[56:57] op_sel:[0,1] op_sel_hi:[1,0] neg_lo:[0,1] neg_hi:[0,1]
	v_pk_mul_f32 v[32:33], v[26:27], s[0:1] op_sel_hi:[1,0]
	v_pk_fma_f32 v[26:27], v[26:27], s[0:1], v[30:31] op_sel_hi:[1,0,1] neg_lo:[1,0,0] neg_hi:[1,0,0]
	v_mov_b32_e32 v59, v41
	v_pk_add_f32 v[40:41], v[26:27], v[32:33] op_sel:[0,1] op_sel_hi:[1,0]
	v_pk_add_f32 v[26:27], v[26:27], v[32:33] op_sel:[0,1] op_sel_hi:[1,0] neg_lo:[0,1] neg_hi:[0,1]
	v_fma_f32 v32, v55, 2.0, -v47
	v_fma_f32 v44, v54, 2.0, -v72
	v_pk_fma_f32 v[0:1], v[0:1], 2.0, v[20:21] op_sel_hi:[1,0,1] neg_lo:[0,0,1] neg_hi:[0,0,1]
	v_pk_fma_f32 v[8:9], v[22:23], 2.0, v[8:9] op_sel_hi:[1,0,1] neg_lo:[0,0,1] neg_hi:[0,0,1]
	v_mov_b32_e32 v41, v27
	v_fmamk_f32 v27, v46, 0xbf6c835e, v32
	v_fmamk_f32 v26, v65, 0xbf6c835e, v44
	v_pk_add_f32 v[8:9], v[0:1], v[8:9] op_sel:[0,1] op_sel_hi:[1,0] neg_lo:[0,1] neg_hi:[0,1]
	v_fmac_f32_e32 v27, 0xbec3ef15, v65
	v_fmac_f32_e32 v26, 0x3ec3ef15, v46
	v_lshl_add_u64 v[34:35], v[34:35], 3, v[28:29]
	v_pk_fma_f32 v[0:1], v[0:1], 2.0, v[8:9] op_sel_hi:[1,0,1] neg_lo:[0,0,1] neg_hi:[0,0,1]
	v_fma_f32 v33, v32, 2.0, -v27
	v_fma_f32 v32, v44, 2.0, -v26
	v_lshl_add_u64 v[44:45], v[52:53], 3, v[28:29]
	v_lshl_add_u64 v[46:47], v[50:51], 3, v[28:29]
	global_store_dwordx2 v[34:35], v[0:1], off
	global_store_dwordx2 v[44:45], v[32:33], off
	v_pk_fma_f32 v[0:1], v[30:31], 2.0, v[40:41] op_sel_hi:[1,0,1] neg_lo:[0,0,1] neg_hi:[0,0,1]
	v_lshl_add_u64 v[2:3], v[2:3], 3, v[28:29]
	global_store_dwordx2 v[46:47], v[0:1], off
	v_pk_fma_f32 v[0:1], v[48:49], 2.0, v[58:59] op_sel_hi:[1,0,1] neg_lo:[0,0,1] neg_hi:[0,0,1]
	v_lshl_add_u64 v[4:5], v[4:5], 3, v[28:29]
	global_store_dwordx2 v[2:3], v[0:1], off
	v_pk_fma_f32 v[0:1], v[20:21], 2.0, v[24:25] op_sel_hi:[1,0,1] neg_lo:[0,0,1] neg_hi:[0,0,1]
	v_lshl_add_u64 v[6:7], v[6:7], 3, v[28:29]
	v_mov_b32_e32 v75, v79
	global_store_dwordx2 v[4:5], v[0:1], off
	v_pk_fma_f32 v[0:1], v[72:73], 2.0, v[42:43] op_sel_hi:[1,0,1] neg_lo:[0,0,1] neg_hi:[0,0,1]
	global_store_dwordx2 v[6:7], v[0:1], off
	v_pk_fma_f32 v[0:1], v[66:67], 2.0, v[74:75] op_sel_hi:[1,0,1] neg_lo:[0,0,1] neg_hi:[0,0,1]
	v_fmac_f32_e32 v77, 0xbec3ef15, v80
	v_lshl_add_u64 v[10:11], v[10:11], 3, v[28:29]
	v_mov_b32_e32 v2, v1
	v_mov_b32_e32 v3, v0
	v_fma_f32 v37, v37, 2.0, -v77
	v_lshl_add_u64 v[12:13], v[12:13], 3, v[28:29]
	v_lshl_add_u64 v[14:15], v[14:15], 3, v[28:29]
	;; [unrolled: 1-line block ×8, first 2 shown]
	global_store_dwordx2 v[10:11], v[2:3], off
	global_store_dwordx2 v[12:13], v[36:37], off
	;; [unrolled: 1-line block ×8, first 2 shown]
	v_mov_b32_e32 v0, v79
	v_mov_b32_e32 v1, v74
	v_add_u32_e32 v3, 0x654, v64
	global_store_dwordx2 v[54:55], v[0:1], off
	v_mad_u64_u32 v[0:1], s[0:1], s6, v3, 0
	v_mov_b32_e32 v2, v1
	v_mad_u64_u32 v[2:3], s[0:1], s7, v3, v[2:3]
	v_mov_b32_e32 v1, v2
	v_lshl_add_u64 v[0:1], v[0:1], 3, v[28:29]
	global_store_dwordx2 v[0:1], v[76:77], off
.LBB0_41:
	s_endpgm
	.section	.rodata,"a",@progbits
	.p2align	6, 0x0
	.amdhsa_kernel fft_rtc_back_len1728_factors_3_6_6_16_wgs_108_tpt_108_halfLds_sp_ip_CI_sbrr_dirReg
		.amdhsa_group_segment_fixed_size 0
		.amdhsa_private_segment_fixed_size 0
		.amdhsa_kernarg_size 88
		.amdhsa_user_sgpr_count 2
		.amdhsa_user_sgpr_dispatch_ptr 0
		.amdhsa_user_sgpr_queue_ptr 0
		.amdhsa_user_sgpr_kernarg_segment_ptr 1
		.amdhsa_user_sgpr_dispatch_id 0
		.amdhsa_user_sgpr_kernarg_preload_length 0
		.amdhsa_user_sgpr_kernarg_preload_offset 0
		.amdhsa_user_sgpr_private_segment_size 0
		.amdhsa_uses_dynamic_stack 0
		.amdhsa_enable_private_segment 0
		.amdhsa_system_sgpr_workgroup_id_x 1
		.amdhsa_system_sgpr_workgroup_id_y 0
		.amdhsa_system_sgpr_workgroup_id_z 0
		.amdhsa_system_sgpr_workgroup_info 0
		.amdhsa_system_vgpr_workitem_id 0
		.amdhsa_next_free_vgpr 92
		.amdhsa_next_free_sgpr 24
		.amdhsa_accum_offset 92
		.amdhsa_reserve_vcc 1
		.amdhsa_float_round_mode_32 0
		.amdhsa_float_round_mode_16_64 0
		.amdhsa_float_denorm_mode_32 3
		.amdhsa_float_denorm_mode_16_64 3
		.amdhsa_dx10_clamp 1
		.amdhsa_ieee_mode 1
		.amdhsa_fp16_overflow 0
		.amdhsa_tg_split 0
		.amdhsa_exception_fp_ieee_invalid_op 0
		.amdhsa_exception_fp_denorm_src 0
		.amdhsa_exception_fp_ieee_div_zero 0
		.amdhsa_exception_fp_ieee_overflow 0
		.amdhsa_exception_fp_ieee_underflow 0
		.amdhsa_exception_fp_ieee_inexact 0
		.amdhsa_exception_int_div_zero 0
	.end_amdhsa_kernel
	.text
.Lfunc_end0:
	.size	fft_rtc_back_len1728_factors_3_6_6_16_wgs_108_tpt_108_halfLds_sp_ip_CI_sbrr_dirReg, .Lfunc_end0-fft_rtc_back_len1728_factors_3_6_6_16_wgs_108_tpt_108_halfLds_sp_ip_CI_sbrr_dirReg
                                        ; -- End function
	.section	.AMDGPU.csdata,"",@progbits
; Kernel info:
; codeLenInByte = 9972
; NumSgprs: 30
; NumVgprs: 92
; NumAgprs: 0
; TotalNumVgprs: 92
; ScratchSize: 0
; MemoryBound: 0
; FloatMode: 240
; IeeeMode: 1
; LDSByteSize: 0 bytes/workgroup (compile time only)
; SGPRBlocks: 3
; VGPRBlocks: 11
; NumSGPRsForWavesPerEU: 30
; NumVGPRsForWavesPerEU: 92
; AccumOffset: 92
; Occupancy: 5
; WaveLimiterHint : 1
; COMPUTE_PGM_RSRC2:SCRATCH_EN: 0
; COMPUTE_PGM_RSRC2:USER_SGPR: 2
; COMPUTE_PGM_RSRC2:TRAP_HANDLER: 0
; COMPUTE_PGM_RSRC2:TGID_X_EN: 1
; COMPUTE_PGM_RSRC2:TGID_Y_EN: 0
; COMPUTE_PGM_RSRC2:TGID_Z_EN: 0
; COMPUTE_PGM_RSRC2:TIDIG_COMP_CNT: 0
; COMPUTE_PGM_RSRC3_GFX90A:ACCUM_OFFSET: 22
; COMPUTE_PGM_RSRC3_GFX90A:TG_SPLIT: 0
	.text
	.p2alignl 6, 3212836864
	.fill 256, 4, 3212836864
	.type	__hip_cuid_97db4516c7ad8ed9,@object ; @__hip_cuid_97db4516c7ad8ed9
	.section	.bss,"aw",@nobits
	.globl	__hip_cuid_97db4516c7ad8ed9
__hip_cuid_97db4516c7ad8ed9:
	.byte	0                               ; 0x0
	.size	__hip_cuid_97db4516c7ad8ed9, 1

	.ident	"AMD clang version 19.0.0git (https://github.com/RadeonOpenCompute/llvm-project roc-6.4.0 25133 c7fe45cf4b819c5991fe208aaa96edf142730f1d)"
	.section	".note.GNU-stack","",@progbits
	.addrsig
	.addrsig_sym __hip_cuid_97db4516c7ad8ed9
	.amdgpu_metadata
---
amdhsa.kernels:
  - .agpr_count:     0
    .args:
      - .actual_access:  read_only
        .address_space:  global
        .offset:         0
        .size:           8
        .value_kind:     global_buffer
      - .offset:         8
        .size:           8
        .value_kind:     by_value
      - .actual_access:  read_only
        .address_space:  global
        .offset:         16
        .size:           8
        .value_kind:     global_buffer
      - .actual_access:  read_only
        .address_space:  global
        .offset:         24
        .size:           8
        .value_kind:     global_buffer
      - .offset:         32
        .size:           8
        .value_kind:     by_value
      - .actual_access:  read_only
        .address_space:  global
        .offset:         40
        .size:           8
        .value_kind:     global_buffer
      - .actual_access:  read_only
        .address_space:  global
        .offset:         48
        .size:           8
        .value_kind:     global_buffer
      - .offset:         56
        .size:           4
        .value_kind:     by_value
      - .actual_access:  read_only
        .address_space:  global
        .offset:         64
        .size:           8
        .value_kind:     global_buffer
      - .actual_access:  read_only
        .address_space:  global
        .offset:         72
        .size:           8
        .value_kind:     global_buffer
      - .address_space:  global
        .offset:         80
        .size:           8
        .value_kind:     global_buffer
    .group_segment_fixed_size: 0
    .kernarg_segment_align: 8
    .kernarg_segment_size: 88
    .language:       OpenCL C
    .language_version:
      - 2
      - 0
    .max_flat_workgroup_size: 108
    .name:           fft_rtc_back_len1728_factors_3_6_6_16_wgs_108_tpt_108_halfLds_sp_ip_CI_sbrr_dirReg
    .private_segment_fixed_size: 0
    .sgpr_count:     30
    .sgpr_spill_count: 0
    .symbol:         fft_rtc_back_len1728_factors_3_6_6_16_wgs_108_tpt_108_halfLds_sp_ip_CI_sbrr_dirReg.kd
    .uniform_work_group_size: 1
    .uses_dynamic_stack: false
    .vgpr_count:     92
    .vgpr_spill_count: 0
    .wavefront_size: 64
amdhsa.target:   amdgcn-amd-amdhsa--gfx950
amdhsa.version:
  - 1
  - 2
...

	.end_amdgpu_metadata
